;; amdgpu-corpus repo=ROCm/rocFFT kind=compiled arch=gfx90a opt=O3
	.text
	.amdgcn_target "amdgcn-amd-amdhsa--gfx90a"
	.amdhsa_code_object_version 6
	.protected	bluestein_single_fwd_len1512_dim1_dp_op_CI_CI ; -- Begin function bluestein_single_fwd_len1512_dim1_dp_op_CI_CI
	.globl	bluestein_single_fwd_len1512_dim1_dp_op_CI_CI
	.p2align	8
	.type	bluestein_single_fwd_len1512_dim1_dp_op_CI_CI,@function
bluestein_single_fwd_len1512_dim1_dp_op_CI_CI: ; @bluestein_single_fwd_len1512_dim1_dp_op_CI_CI
; %bb.0:
	s_load_dwordx4 s[16:19], s[4:5], 0x28
	s_mov_b64 s[38:39], s[2:3]
	s_mov_b64 s[36:37], s[0:1]
	v_mul_u32_u24_e32 v1, 0x411, v0
	s_add_u32 s36, s36, s7
	v_add_u32_sdwa v6, s6, v1 dst_sel:DWORD dst_unused:UNUSED_PAD src0_sel:DWORD src1_sel:WORD_1
	v_mov_b32_e32 v7, 0
	s_addc_u32 s37, s37, 0
	s_waitcnt lgkmcnt(0)
	v_cmp_gt_u64_e32 vcc, s[16:17], v[6:7]
	s_and_saveexec_b64 s[0:1], vcc
	s_cbranch_execz .LBB0_10
; %bb.1:
	s_load_dwordx4 s[8:11], s[4:5], 0x18
	s_load_dwordx4 s[12:15], s[4:5], 0x0
	v_mov_b32_e32 v2, 63
	v_mul_lo_u16_sdwa v1, v1, v2 dst_sel:DWORD dst_unused:UNUSED_PAD src0_sel:WORD_1 src1_sel:DWORD
	v_sub_u16_e32 v152, v0, v1
	s_waitcnt lgkmcnt(0)
	s_load_dwordx4 s[0:3], s[8:9], 0x0
	v_accvgpr_write_b32 a34, v6
	v_lshlrev_b32_e32 v148, 4, v152
	global_load_dwordx4 v[62:65], v148, s[12:13]
	v_mov_b32_e32 v42, 0x2f40
	s_waitcnt lgkmcnt(0)
	v_mad_u64_u32 v[0:1], s[6:7], s2, v6, 0
	v_mov_b32_e32 v4, v1
	v_mad_u64_u32 v[2:3], s[6:7], s0, v152, 0
	v_mad_u64_u32 v[4:5], s[2:3], s3, v6, v[4:5]
	v_mov_b32_e32 v1, v4
	v_mov_b32_e32 v4, v3
	v_mad_u64_u32 v[4:5], s[2:3], s1, v152, v[4:5]
	v_lshlrev_b64 v[0:1], 4, v[0:1]
	v_mov_b32_e32 v3, v4
	v_mov_b32_e32 v4, s19
	v_add_co_u32_e32 v5, vcc, s18, v0
	v_addc_co_u32_e32 v6, vcc, v4, v1, vcc
	v_lshlrev_b64 v[0:1], 4, v[2:3]
	v_add_co_u32_e32 v4, vcc, v5, v0
	v_addc_co_u32_e32 v5, vcc, v6, v1, vcc
	global_load_dwordx4 v[0:3], v[4:5], off
	v_mad_u64_u32 v[4:5], s[2:3], s0, v42, v[4:5]
	v_mov_b32_e32 v6, s13
	v_add_co_u32_e32 v43, vcc, s12, v148
	s_mul_i32 s2, s1, 0x2f40
	v_addc_co_u32_e32 v44, vcc, 0, v6, vcc
	v_add_u32_e32 v5, s2, v5
	s_movk_i32 s3, 0x2000
	v_mov_b32_e32 v45, 0xffffd4b0
	s_mulk_i32 s1, 0xd4b0
	v_add_co_u32_e32 v36, vcc, s3, v43
	v_mad_u64_u32 v[12:13], s[6:7], s0, v45, v[4:5]
	s_sub_i32 s3, s1, s0
	v_add_u32_e32 v13, s3, v13
	v_mad_u64_u32 v[16:17], s[6:7], s0, v42, v[12:13]
	v_add_u32_e32 v17, s2, v17
	v_mad_u64_u32 v[20:21], s[6:7], s0, v45, v[16:17]
	;; [unrolled: 2-line block ×4, first 2 shown]
	v_addc_co_u32_e32 v37, vcc, 0, v44, vcc
	v_add_u32_e32 v29, s3, v29
	global_load_dwordx4 v[50:53], v[36:37], off offset:3904
	global_load_dwordx4 v[8:11], v[4:5], off
	s_movk_i32 s1, 0x3000
	v_mad_u64_u32 v[32:33], s[6:7], s0, v42, v[28:29]
	v_add_co_u32_e32 v38, vcc, s1, v43
	v_add_u32_e32 v33, s2, v33
	v_addc_co_u32_e32 v39, vcc, 0, v44, vcc
	v_mad_u64_u32 v[40:41], s[6:7], s0, v45, v[32:33]
	global_load_dwordx4 v[4:7], v[12:13], off
	global_load_dwordx4 v[78:81], v148, s[12:13] offset:1008
	global_load_dwordx4 v[92:95], v[38:39], off offset:816
	s_nop 0
	global_load_dwordx4 v[12:15], v[16:17], off
	s_nop 0
	global_load_dwordx4 v[16:19], v[20:21], off
	global_load_dwordx4 v[66:69], v148, s[12:13] offset:2016
	s_nop 0
	global_load_dwordx4 v[20:23], v[24:25], off
	global_load_dwordx4 v[58:61], v[38:39], off offset:1824
	s_nop 0
	global_load_dwordx4 v[24:27], v[28:29], off
	global_load_dwordx4 v[74:77], v148, s[12:13] offset:3024
	s_nop 0
	global_load_dwordx4 v[28:31], v[32:33], off
	global_load_dwordx4 v[88:91], v[38:39], off offset:2832
	v_add_u32_e32 v41, s3, v41
	global_load_dwordx4 v[54:57], v148, s[12:13] offset:4032
	global_load_dwordx4 v[32:35], v[40:41], off
	s_load_dwordx4 s[8:11], s[10:11], 0x0
	global_load_dwordx4 v[70:73], v[36:37], off offset:2896
	v_add_co_u32_e32 v85, vcc, 63, v152
	s_movk_i32 s1, 0x7e
	v_addc_co_u32_e64 v86, s[6:7], 0, 0, vcc
	v_add_co_u32_e32 v83, vcc, s1, v152
	s_movk_i32 s1, 0xbd
	v_add_co_u32_e32 v150, vcc, s1, v152
	s_movk_i32 s1, 0xfc
	v_lshlrev_b32_e32 v149, 5, v152
	v_and_b32_e32 v87, 1, v152
	v_and_b32_e32 v142, 1, v85
	;; [unrolled: 1-line block ×3, first 2 shown]
	v_accvgpr_write_b32 a0, v152
                                        ; implicit-def: $vgpr192_vgpr193
                                        ; implicit-def: $vgpr196_vgpr197
                                        ; implicit-def: $vgpr180_vgpr181
                                        ; implicit-def: $vgpr184_vgpr185
	s_waitcnt vmcnt(17)
	v_mul_f64 v[46:47], v[2:3], v[64:65]
	v_mul_f64 v[48:49], v[0:1], v[64:65]
	v_fmac_f64_e32 v[46:47], v[0:1], v[62:63]
	buffer_store_dword v62, off, s[36:39], 0 offset:568 ; 4-byte Folded Spill
	s_nop 0
	buffer_store_dword v63, off, s[36:39], 0 offset:572 ; 4-byte Folded Spill
	buffer_store_dword v64, off, s[36:39], 0 offset:576 ; 4-byte Folded Spill
	;; [unrolled: 1-line block ×3, first 2 shown]
	s_waitcnt vmcnt(19)
	v_mul_f64 v[0:1], v[10:11], v[52:53]
	v_fmac_f64_e32 v[0:1], v[8:9], v[50:51]
	v_fma_f64 v[48:49], v[2:3], v[62:63], -v[48:49]
	ds_write_b128 v148, v[46:49]
	v_mul_f64 v[2:3], v[8:9], v[52:53]
	buffer_store_dword v50, off, s[36:39], 0 offset:532 ; 4-byte Folded Spill
	s_nop 0
	buffer_store_dword v51, off, s[36:39], 0 offset:536 ; 4-byte Folded Spill
	buffer_store_dword v52, off, s[36:39], 0 offset:540 ; 4-byte Folded Spill
	;; [unrolled: 1-line block ×3, first 2 shown]
	v_mad_u64_u32 v[8:9], s[6:7], s0, v42, v[40:41]
	v_add_u32_e32 v9, s2, v9
	v_fma_f64 v[2:3], v[10:11], v[50:51], -v[2:3]
	ds_write_b128 v148, v[0:3] offset:12096
	s_waitcnt vmcnt(21)
	v_mul_f64 v[0:1], v[6:7], v[80:81]
	v_fmac_f64_e32 v[0:1], v[4:5], v[78:79]
	v_mul_f64 v[2:3], v[4:5], v[80:81]
	buffer_store_dword v78, off, s[36:39], 0 offset:516 ; 4-byte Folded Spill
	s_nop 0
	buffer_store_dword v79, off, s[36:39], 0 offset:520 ; 4-byte Folded Spill
	buffer_store_dword v80, off, s[36:39], 0 offset:524 ; 4-byte Folded Spill
	;; [unrolled: 1-line block ×3, first 2 shown]
	v_add_co_u32_e32 v81, vcc, s1, v152
	v_fma_f64 v[2:3], v[6:7], v[78:79], -v[2:3]
	ds_write_b128 v148, v[0:3] offset:1008
	s_waitcnt vmcnt(23)
	v_mul_f64 v[0:1], v[14:15], v[94:95]
	v_fmac_f64_e32 v[0:1], v[12:13], v[92:93]
	v_mul_f64 v[2:3], v[12:13], v[94:95]
	buffer_store_dword v92, off, s[36:39], 0 offset:500 ; 4-byte Folded Spill
	s_nop 0
	buffer_store_dword v93, off, s[36:39], 0 offset:504 ; 4-byte Folded Spill
	buffer_store_dword v94, off, s[36:39], 0 offset:508 ; 4-byte Folded Spill
	;; [unrolled: 1-line block ×3, first 2 shown]
	v_mad_u64_u32 v[12:13], s[6:7], s0, v45, v[8:9]
	v_add_u32_e32 v13, s3, v13
	s_movk_i32 s6, 0x1000
	v_fma_f64 v[2:3], v[14:15], v[92:93], -v[2:3]
	ds_write_b128 v148, v[0:3] offset:13104
	s_waitcnt vmcnt(25)
	v_mul_f64 v[0:1], v[18:19], v[68:69]
	v_fmac_f64_e32 v[0:1], v[16:17], v[66:67]
	v_mul_f64 v[2:3], v[16:17], v[68:69]
	buffer_store_dword v66, off, s[36:39], 0 offset:484 ; 4-byte Folded Spill
	s_nop 0
	buffer_store_dword v67, off, s[36:39], 0 offset:488 ; 4-byte Folded Spill
	buffer_store_dword v68, off, s[36:39], 0 offset:492 ; 4-byte Folded Spill
	buffer_store_dword v69, off, s[36:39], 0 offset:496 ; 4-byte Folded Spill
	v_fma_f64 v[2:3], v[18:19], v[66:67], -v[2:3]
	ds_write_b128 v148, v[0:3] offset:2016
	s_waitcnt vmcnt(27)
	v_mul_f64 v[0:1], v[22:23], v[60:61]
	v_fmac_f64_e32 v[0:1], v[20:21], v[58:59]
	v_mul_f64 v[2:3], v[20:21], v[60:61]
	buffer_store_dword v58, off, s[36:39], 0 offset:468 ; 4-byte Folded Spill
	s_nop 0
	buffer_store_dword v59, off, s[36:39], 0 offset:472 ; 4-byte Folded Spill
	buffer_store_dword v60, off, s[36:39], 0 offset:476 ; 4-byte Folded Spill
	buffer_store_dword v61, off, s[36:39], 0 offset:480 ; 4-byte Folded Spill
	;; [unrolled: 11-line block ×3, first 2 shown]
	global_load_dwordx4 v[4:7], v[8:9], off
	global_load_dwordx4 v[128:131], v[38:39], off offset:3840
	v_fma_f64 v[2:3], v[26:27], v[74:75], -v[2:3]
	ds_write_b128 v148, v[0:3] offset:3024
	s_waitcnt vmcnt(33)
	v_mul_f64 v[0:1], v[30:31], v[90:91]
	v_fmac_f64_e32 v[0:1], v[28:29], v[88:89]
	v_mul_f64 v[2:3], v[28:29], v[90:91]
	buffer_store_dword v88, off, s[36:39], 0 offset:404 ; 4-byte Folded Spill
	s_nop 0
	buffer_store_dword v89, off, s[36:39], 0 offset:408 ; 4-byte Folded Spill
	buffer_store_dword v90, off, s[36:39], 0 offset:412 ; 4-byte Folded Spill
	;; [unrolled: 1-line block ×3, first 2 shown]
	global_load_dwordx4 v[8:11], v[12:13], off
	s_waitcnt vmcnt(5)
	v_mul_f64 v[50:51], v[6:7], v[130:131]
	v_fmac_f64_e32 v[50:51], v[4:5], v[128:129]
	v_mul_f64 v[4:5], v[4:5], v[130:131]
	v_fma_f64 v[2:3], v[30:31], v[88:89], -v[2:3]
	ds_write_b128 v148, v[0:3] offset:15120
	v_mul_f64 v[0:1], v[34:35], v[56:57]
	v_fmac_f64_e32 v[0:1], v[32:33], v[54:55]
	v_mul_f64 v[2:3], v[32:33], v[56:57]
	v_add_co_u32_e32 v32, vcc, s6, v43
	v_mad_u64_u32 v[16:17], s[6:7], s0, v42, v[12:13]
	v_addc_co_u32_e32 v33, vcc, 0, v44, vcc
	s_movk_i32 s6, 0x4000
	v_add_co_u32_e32 v38, vcc, s6, v43
	v_add_u32_e32 v17, s2, v17
	v_addc_co_u32_e32 v39, vcc, 0, v44, vcc
	global_load_dwordx4 v[132:135], v[32:33], off offset:944
	global_load_dwordx4 v[124:127], v[38:39], off offset:752
	global_load_dwordx4 v[12:15], v[16:17], off
	s_nop 0
	buffer_store_dword v54, off, s[36:39], 0 offset:364 ; 4-byte Folded Spill
	s_nop 0
	buffer_store_dword v55, off, s[36:39], 0 offset:368 ; 4-byte Folded Spill
	buffer_store_dword v56, off, s[36:39], 0 offset:372 ; 4-byte Folded Spill
	;; [unrolled: 1-line block ×3, first 2 shown]
	v_mad_u64_u32 v[16:17], s[6:7], s0, v45, v[16:17]
	v_add_u32_e32 v17, s3, v17
	v_mad_u64_u32 v[20:21], s[6:7], s0, v42, v[16:17]
	v_add_u32_e32 v21, s2, v21
	;; [unrolled: 2-line block ×4, first 2 shown]
	v_fma_f64 v[2:3], v[34:35], v[54:55], -v[2:3]
	v_mad_u64_u32 v[34:35], s[6:7], s0, v45, v[28:29]
	v_add_u32_e32 v35, s3, v35
	v_mad_u64_u32 v[40:41], s[6:7], s0, v42, v[34:35]
	v_add_u32_e32 v41, s2, v41
	;; [unrolled: 2-line block ×3, first 2 shown]
	v_mad_u64_u32 v[52:53], s[6:7], s0, v42, v[46:47]
	ds_write_b128 v148, v[0:3] offset:4032
	v_add_u32_e32 v53, s2, v53
	s_movk_i32 s6, 0x5000
	global_load_dwordx4 v[0:3], v[16:17], off
	global_load_dwordx4 v[120:123], v[32:33], off offset:1952
	s_nop 0
	global_load_dwordx4 v[16:19], v[20:21], off
	global_load_dwordx4 v[116:119], v[38:39], off offset:1760
	v_add_co_u32_e32 v66, vcc, s6, v43
	global_load_dwordx4 v[20:23], v[24:25], off
	s_nop 0
	global_load_dwordx4 v[24:27], v[28:29], off
	global_load_dwordx4 v[112:115], v[32:33], off offset:2960
	global_load_dwordx4 v[108:111], v[38:39], off offset:2768
	s_nop 0
	global_load_dwordx4 v[28:31], v[34:35], off
	global_load_dwordx4 v[104:107], v[32:33], off offset:3968
	s_nop 0
	global_load_dwordx4 v[32:35], v[40:41], off
	global_load_dwordx4 v[100:103], v[38:39], off offset:3776
	s_nop 0
	global_load_dwordx4 v[38:41], v[46:47], off
	global_load_dwordx4 v[96:99], v[36:37], off offset:880
	v_addc_co_u32_e32 v67, vcc, 0, v44, vcc
	global_load_dwordx4 v[46:49], v[52:53], off
	v_mad_u64_u32 v[52:53], s[6:7], s0, v45, v[52:53]
	v_add_u32_e32 v53, s3, v53
	global_load_dwordx4 v[92:95], v[66:67], off offset:688
	global_load_dwordx4 v[54:57], v[52:53], off
	global_load_dwordx4 v[88:91], v[36:37], off offset:1888
	v_mad_u64_u32 v[36:37], s[6:7], s0, v42, v[52:53]
	v_add_u32_e32 v37, s2, v37
	global_load_dwordx4 v[58:61], v[36:37], off
	global_load_dwordx4 v[74:77], v[66:67], off offset:1696
	v_mad_u64_u32 v[36:37], s[6:7], s0, v45, v[36:37]
	v_add_u32_e32 v37, s3, v37
	global_load_dwordx4 v[62:65], v[36:37], off
	v_mad_u64_u32 v[36:37], s[6:7], s0, v42, v[36:37]
	v_add_u32_e32 v37, s2, v37
	global_load_dwordx4 v[42:45], v[36:37], off
	s_nop 0
	global_load_dwordx4 v[66:69], v[66:67], off offset:2704
	s_nop 0
	buffer_store_dword v128, off, s[36:39], 0 offset:436 ; 4-byte Folded Spill
	s_nop 0
	buffer_store_dword v129, off, s[36:39], 0 offset:440 ; 4-byte Folded Spill
	buffer_store_dword v130, off, s[36:39], 0 offset:444 ; 4-byte Folded Spill
	;; [unrolled: 1-line block ×3, first 2 shown]
	s_movk_i32 s0, 0x13b
	v_add_co_u32_e32 v84, vcc, s0, v152
	s_movk_i32 s0, 0x17a
	v_add_co_u32_e32 v82, vcc, s0, v152
	;; [unrolled: 2-line block ×3, first 2 shown]
	v_and_b32_e32 v145, 1, v84
	v_and_b32_e32 v146, 1, v80
	s_movk_i32 s0, 0x7c
	s_mov_b32 s3, 0xbfebb67a
	s_movk_i32 s6, 0xab
	v_fma_f64 v[52:53], v[6:7], v[128:129], -v[4:5]
	s_waitcnt vmcnt(33)
	v_mul_f64 v[4:5], v[10:11], v[134:135]
	ds_write_b128 v148, v[50:53] offset:16128
	v_fmac_f64_e32 v[4:5], v[8:9], v[132:133]
	v_mul_f64 v[6:7], v[8:9], v[134:135]
	buffer_store_dword v132, off, s[36:39], 0 offset:420 ; 4-byte Folded Spill
	s_nop 0
	buffer_store_dword v133, off, s[36:39], 0 offset:424 ; 4-byte Folded Spill
	buffer_store_dword v134, off, s[36:39], 0 offset:428 ; 4-byte Folded Spill
	;; [unrolled: 1-line block ×3, first 2 shown]
	v_fma_f64 v[6:7], v[10:11], v[132:133], -v[6:7]
	ds_write_b128 v148, v[4:7] offset:5040
	s_waitcnt vmcnt(35)
	v_mul_f64 v[4:5], v[14:15], v[126:127]
	v_fmac_f64_e32 v[4:5], v[12:13], v[124:125]
	v_mul_f64 v[6:7], v[12:13], v[126:127]
	buffer_store_dword v124, off, s[36:39], 0 offset:388 ; 4-byte Folded Spill
	s_nop 0
	buffer_store_dword v125, off, s[36:39], 0 offset:392 ; 4-byte Folded Spill
	buffer_store_dword v126, off, s[36:39], 0 offset:396 ; 4-byte Folded Spill
	;; [unrolled: 1-line block ×3, first 2 shown]
	v_fma_f64 v[6:7], v[14:15], v[124:125], -v[6:7]
	ds_write_b128 v148, v[4:7] offset:17136
	s_waitcnt vmcnt(33)
	v_mul_f64 v[4:5], v[2:3], v[122:123]
	v_fmac_f64_e32 v[4:5], v[0:1], v[120:121]
	v_mul_f64 v[0:1], v[0:1], v[122:123]
	buffer_store_dword v120, off, s[36:39], 0 offset:348 ; 4-byte Folded Spill
	s_nop 0
	buffer_store_dword v121, off, s[36:39], 0 offset:352 ; 4-byte Folded Spill
	buffer_store_dword v122, off, s[36:39], 0 offset:356 ; 4-byte Folded Spill
	;; [unrolled: 1-line block ×3, first 2 shown]
	v_fma_f64 v[6:7], v[2:3], v[120:121], -v[0:1]
	s_waitcnt vmcnt(35)
	v_mul_f64 v[0:1], v[18:19], v[118:119]
	ds_write_b128 v148, v[4:7] offset:6048
	v_fmac_f64_e32 v[0:1], v[16:17], v[116:117]
	v_mul_f64 v[2:3], v[16:17], v[118:119]
	buffer_store_dword v116, off, s[36:39], 0 offset:332 ; 4-byte Folded Spill
	s_nop 0
	buffer_store_dword v117, off, s[36:39], 0 offset:336 ; 4-byte Folded Spill
	buffer_store_dword v118, off, s[36:39], 0 offset:340 ; 4-byte Folded Spill
	;; [unrolled: 1-line block ×3, first 2 shown]
	s_waitcnt vmcnt(29)
	v_mul_f64 v[4:5], v[40:41], v[98:99]
	v_fmac_f64_e32 v[4:5], v[38:39], v[96:97]
	v_fma_f64 v[2:3], v[18:19], v[116:117], -v[2:3]
	ds_write_b128 v148, v[0:3] offset:18144
	v_mul_f64 v[0:1], v[22:23], v[114:115]
	v_fmac_f64_e32 v[0:1], v[20:21], v[112:113]
	v_mul_f64 v[2:3], v[20:21], v[114:115]
	buffer_store_dword v112, off, s[36:39], 0 offset:316 ; 4-byte Folded Spill
	s_nop 0
	buffer_store_dword v113, off, s[36:39], 0 offset:320 ; 4-byte Folded Spill
	buffer_store_dword v114, off, s[36:39], 0 offset:324 ; 4-byte Folded Spill
	buffer_store_dword v115, off, s[36:39], 0 offset:328 ; 4-byte Folded Spill
	v_fma_f64 v[2:3], v[22:23], v[112:113], -v[2:3]
	ds_write_b128 v148, v[0:3] offset:7056
	v_mul_f64 v[0:1], v[26:27], v[110:111]
	v_fmac_f64_e32 v[0:1], v[24:25], v[108:109]
	v_mul_f64 v[2:3], v[24:25], v[110:111]
	buffer_store_dword v108, off, s[36:39], 0 offset:228 ; 4-byte Folded Spill
	s_nop 0
	buffer_store_dword v109, off, s[36:39], 0 offset:232 ; 4-byte Folded Spill
	buffer_store_dword v110, off, s[36:39], 0 offset:236 ; 4-byte Folded Spill
	buffer_store_dword v111, off, s[36:39], 0 offset:240 ; 4-byte Folded Spill
	;; [unrolled: 10-line block ×4, first 2 shown]
	v_fma_f64 v[2:3], v[34:35], v[100:101], -v[2:3]
	ds_write_b128 v148, v[0:3] offset:20160
	v_mul_f64 v[0:1], v[38:39], v[98:99]
	buffer_store_dword v96, off, s[36:39], 0 offset:180 ; 4-byte Folded Spill
	s_nop 0
	buffer_store_dword v97, off, s[36:39], 0 offset:184 ; 4-byte Folded Spill
	buffer_store_dword v98, off, s[36:39], 0 offset:188 ; 4-byte Folded Spill
	;; [unrolled: 1-line block ×3, first 2 shown]
	v_lshlrev_b32_e32 v3, 5, v85
	v_add_u32_e32 v2, 0x237, v152
	v_and_b32_e32 v147, 1, v2
	v_fma_f64 v[6:7], v[40:41], v[96:97], -v[0:1]
	ds_write_b128 v148, v[4:7] offset:9072
	s_waitcnt vmcnt(47)
	v_mul_f64 v[4:5], v[48:49], v[94:95]
	v_fmac_f64_e32 v[4:5], v[46:47], v[92:93]
	v_mul_f64 v[0:1], v[46:47], v[94:95]
	buffer_store_dword v92, off, s[36:39], 0 offset:152 ; 4-byte Folded Spill
	s_nop 0
	buffer_store_dword v93, off, s[36:39], 0 offset:156 ; 4-byte Folded Spill
	buffer_store_dword v94, off, s[36:39], 0 offset:160 ; 4-byte Folded Spill
	;; [unrolled: 1-line block ×3, first 2 shown]
	v_fma_f64 v[6:7], v[48:49], v[92:93], -v[0:1]
	ds_write_b128 v148, v[4:7] offset:21168
	s_waitcnt vmcnt(49)
	v_mul_f64 v[4:5], v[56:57], v[90:91]
	v_fmac_f64_e32 v[4:5], v[54:55], v[88:89]
	v_mul_f64 v[6:7], v[54:55], v[90:91]
	buffer_store_dword v88, off, s[36:39], 0 offset:136 ; 4-byte Folded Spill
	s_nop 0
	buffer_store_dword v89, off, s[36:39], 0 offset:140 ; 4-byte Folded Spill
	buffer_store_dword v90, off, s[36:39], 0 offset:144 ; 4-byte Folded Spill
	;; [unrolled: 1-line block ×3, first 2 shown]
	v_add_u32_e32 v1, 0x276, v152
	v_add_u32_e32 v0, 0x2b5, v152
	v_and_b32_e32 v143, 1, v0
	v_fma_f64 v[6:7], v[56:57], v[88:89], -v[6:7]
	ds_write_b128 v148, v[4:7] offset:10080
	s_waitcnt vmcnt(51)
	v_mul_f64 v[4:5], v[60:61], v[76:77]
	v_fmac_f64_e32 v[4:5], v[58:59], v[74:75]
	v_mul_f64 v[6:7], v[58:59], v[76:77]
	buffer_store_dword v74, off, s[36:39], 0 offset:112 ; 4-byte Folded Spill
	s_nop 0
	buffer_store_dword v75, off, s[36:39], 0 offset:116 ; 4-byte Folded Spill
	buffer_store_dword v76, off, s[36:39], 0 offset:120 ; 4-byte Folded Spill
	buffer_store_dword v77, off, s[36:39], 0 offset:124 ; 4-byte Folded Spill
	v_fma_f64 v[6:7], v[60:61], v[74:75], -v[6:7]
	ds_write_b128 v148, v[4:7] offset:22176
	s_waitcnt vmcnt(54)
	v_mul_f64 v[4:5], v[64:65], v[72:73]
	v_fmac_f64_e32 v[4:5], v[62:63], v[70:71]
	v_mul_f64 v[6:7], v[62:63], v[72:73]
	buffer_store_dword v70, off, s[36:39], 0 offset:88 ; 4-byte Folded Spill
	s_nop 0
	buffer_store_dword v71, off, s[36:39], 0 offset:92 ; 4-byte Folded Spill
	buffer_store_dword v72, off, s[36:39], 0 offset:96 ; 4-byte Folded Spill
	buffer_store_dword v73, off, s[36:39], 0 offset:100 ; 4-byte Folded Spill
	;; [unrolled: 11-line block ×3, first 2 shown]
	v_fma_f64 v[6:7], v[44:45], v[66:67], -v[6:7]
	ds_write_b128 v148, v[4:7] offset:23184
	s_waitcnt lgkmcnt(0)
	; wave barrier
	s_waitcnt lgkmcnt(0)
	ds_read_b128 v[4:7], v148
	ds_read_b128 v[8:11], v148 offset:1008
	ds_read_b128 v[12:15], v148 offset:12096
	ds_read_b128 v[16:19], v148 offset:13104
	ds_read_b128 v[20:23], v148 offset:2016
	ds_read_b128 v[24:27], v148 offset:3024
	ds_read_b128 v[28:31], v148 offset:14112
	ds_read_b128 v[32:35], v148 offset:15120
	ds_read_b128 v[36:39], v148 offset:4032
	ds_read_b128 v[40:43], v148 offset:5040
	ds_read_b128 v[44:47], v148 offset:16128
	ds_read_b128 v[48:51], v148 offset:17136
	ds_read_b128 v[52:55], v148 offset:6048
	ds_read_b128 v[56:59], v148 offset:7056
	ds_read_b128 v[60:63], v148 offset:18144
	ds_read_b128 v[64:67], v148 offset:19152
	ds_read_b128 v[68:71], v148 offset:8064
	ds_read_b128 v[72:75], v148 offset:9072
	ds_read_b128 v[76:79], v148 offset:20160
	ds_read_b128 v[88:91], v148 offset:21168
	ds_read_b128 v[92:95], v148 offset:10080
	ds_read_b128 v[96:99], v148 offset:11088
	ds_read_b128 v[100:103], v148 offset:22176
	ds_read_b128 v[104:107], v148 offset:23184
	s_waitcnt lgkmcnt(14)
	v_add_f64 v[12:13], v[4:5], -v[12:13]
	v_add_f64 v[14:15], v[6:7], -v[14:15]
	;; [unrolled: 1-line block ×4, first 2 shown]
	v_fma_f64 v[108:109], v[4:5], 2.0, -v[12:13]
	v_fma_f64 v[110:111], v[6:7], 2.0, -v[14:15]
	;; [unrolled: 1-line block ×4, first 2 shown]
	v_add_f64 v[28:29], v[20:21], -v[28:29]
	v_add_f64 v[30:31], v[22:23], -v[30:31]
	v_fma_f64 v[20:21], v[20:21], 2.0, -v[28:29]
	v_fma_f64 v[22:23], v[22:23], 2.0, -v[30:31]
	v_add_f64 v[32:33], v[24:25], -v[32:33]
	v_add_f64 v[34:35], v[26:27], -v[34:35]
	s_waitcnt lgkmcnt(0)
	; wave barrier
	s_waitcnt lgkmcnt(0)
	ds_write_b128 v149, v[108:111]
	ds_write_b128 v149, v[12:15] offset:16
	ds_write_b128 v3, v[6:9]
	buffer_store_dword v3, off, s[36:39], 0 offset:556 ; 4-byte Folded Spill
	ds_write_b128 v3, v[16:19] offset:16
	v_lshlrev_b32_e32 v3, 5, v83
	v_fma_f64 v[24:25], v[24:25], 2.0, -v[32:33]
	v_fma_f64 v[26:27], v[26:27], 2.0, -v[34:35]
	v_add_f64 v[44:45], v[36:37], -v[44:45]
	v_add_f64 v[46:47], v[38:39], -v[46:47]
	ds_write_b128 v3, v[20:23]
	buffer_store_dword v3, off, s[36:39], 0 offset:552 ; 4-byte Folded Spill
	ds_write_b128 v3, v[28:31] offset:16
	v_lshlrev_b32_e32 v3, 5, v150
	v_fma_f64 v[36:37], v[36:37], 2.0, -v[44:45]
	v_fma_f64 v[38:39], v[38:39], 2.0, -v[46:47]
	v_add_f64 v[48:49], v[40:41], -v[48:49]
	v_add_f64 v[50:51], v[42:43], -v[50:51]
	;; [unrolled: 8-line block ×5, first 2 shown]
	v_lshlrev_b32_e32 v4, 1, v152
	ds_write_b128 v3, v[52:55]
	buffer_store_dword v3, off, s[36:39], 0 offset:308 ; 4-byte Folded Spill
	ds_write_b128 v3, v[60:63] offset:16
	v_lshlrev_b32_e32 v3, 5, v80
	v_fma_f64 v[68:69], v[68:69], 2.0, -v[76:77]
	v_fma_f64 v[70:71], v[70:71], 2.0, -v[78:79]
	ds_write_b128 v3, v[56:59]
	buffer_store_dword v3, off, s[36:39], 0 offset:300 ; 4-byte Folded Spill
	ds_write_b128 v3, v[64:67] offset:16
	v_add_u32_e32 v3, 0x3f0, v4
	v_lshlrev_b32_e32 v5, 4, v4
	v_add_f64 v[88:89], v[72:73], -v[88:89]
	v_add_f64 v[90:91], v[74:75], -v[90:91]
	v_lshlrev_b32_e32 v6, 4, v3
	ds_write_b128 v5, v[68:71] offset:16128
	v_lshlrev_b32_e32 v5, 5, v2
	v_fma_f64 v[72:73], v[72:73], 2.0, -v[88:89]
	v_fma_f64 v[74:75], v[74:75], 2.0, -v[90:91]
	v_add_f64 v[100:101], v[92:93], -v[100:101]
	v_add_f64 v[102:103], v[94:95], -v[102:103]
	ds_write_b128 v6, v[76:79] offset:16
	buffer_store_dword v5, off, s[36:39], 0 offset:288 ; 4-byte Folded Spill
	ds_write_b128 v5, v[88:91] offset:16
	v_lshlrev_b32_e32 v5, 5, v1
	v_fma_f64 v[92:93], v[92:93], 2.0, -v[100:101]
	v_fma_f64 v[94:95], v[94:95], 2.0, -v[102:103]
	v_add_f64 v[104:105], v[96:97], -v[104:105]
	v_add_f64 v[106:107], v[98:99], -v[106:107]
	ds_write_b128 v149, v[72:75] offset:18144
	buffer_store_dword v5, off, s[36:39], 0 offset:284 ; 4-byte Folded Spill
	ds_write_b128 v5, v[100:103] offset:16
	v_lshlrev_b32_e32 v5, 5, v0
	v_fma_f64 v[96:97], v[96:97], 2.0, -v[104:105]
	v_fma_f64 v[98:99], v[98:99], 2.0, -v[106:107]
	ds_write_b128 v149, v[92:95] offset:20160
	buffer_store_dword v5, off, s[36:39], 0 offset:280 ; 4-byte Folded Spill
	ds_write_b128 v5, v[104:107] offset:16
	v_lshlrev_b32_e32 v5, 4, v87
	buffer_store_dword v6, off, s[36:39], 0 offset:296 ; 4-byte Folded Spill
	ds_write_b128 v149, v[96:99] offset:22176
	s_waitcnt lgkmcnt(0)
	; wave barrier
	s_waitcnt lgkmcnt(0)
	global_load_dwordx4 v[216:219], v5, s[14:15]
	v_lshlrev_b32_e32 v5, 4, v142
	v_lshlrev_b32_e32 v6, 4, v143
	global_load_dwordx4 v[154:157], v6, s[14:15]
	global_load_dwordx2 v[102:103], v5, s[14:15]
	v_lshlrev_b32_e32 v5, 4, v144
	global_load_dwordx4 v[110:113], v5, s[14:15]
	v_lshlrev_b32_e32 v5, 4, v145
	global_load_dwordx4 v[118:121], v5, s[14:15]
	;; [unrolled: 2-line block ×4, first 2 shown]
	global_load_dwordx2 v[140:141], v6, s[14:15] offset:8
	ds_read_b128 v[6:9], v148
	ds_read_b128 v[10:13], v148 offset:1008
	ds_read_b128 v[14:17], v148 offset:12096
	;; [unrolled: 1-line block ×19, first 2 shown]
	v_and_or_b32 v5, v4, s0, v87
	v_lshlrev_b32_e32 v5, 4, v5
	s_movk_i32 s0, 0x1fc
	s_waitcnt vmcnt(7) lgkmcnt(14)
	v_mul_f64 v[78:79], v[16:17], v[218:219]
	v_fma_f64 v[78:79], v[14:15], v[216:217], -v[78:79]
	v_mul_f64 v[96:97], v[14:15], v[218:219]
	s_waitcnt vmcnt(6)
	v_mul_f64 v[14:15], v[20:21], v[156:157]
	s_waitcnt vmcnt(5)
	v_fma_f64 v[98:99], v[18:19], v[102:103], -v[14:15]
	v_mul_f64 v[100:101], v[18:19], v[156:157]
	v_accvgpr_write_b32 a119, v103
	s_waitcnt lgkmcnt(13)
	v_mul_f64 v[14:15], v[32:33], v[218:219]
	v_accvgpr_write_b32 a118, v102
	v_fmac_f64_e32 v[100:101], v[20:21], v[102:103]
	v_fma_f64 v[102:103], v[30:31], v[216:217], -v[14:15]
	s_waitcnt vmcnt(4) lgkmcnt(12)
	v_mul_f64 v[14:15], v[36:37], v[112:113]
	v_fma_f64 v[106:107], v[34:35], v[110:111], -v[14:15]
	v_mul_f64 v[108:109], v[34:35], v[112:113]
	v_accvgpr_write_b32 a72, v110
	s_waitcnt lgkmcnt(9)
	v_mul_f64 v[14:15], v[48:49], v[218:219]
	v_mul_f64 v[104:105], v[30:31], v[218:219]
	v_accvgpr_write_b32 a73, v111
	v_accvgpr_write_b32 a74, v112
	;; [unrolled: 1-line block ×3, first 2 shown]
	v_fmac_f64_e32 v[108:109], v[36:37], v[110:111]
	v_fma_f64 v[110:111], v[46:47], v[216:217], -v[14:15]
	s_waitcnt vmcnt(3) lgkmcnt(8)
	v_mul_f64 v[14:15], v[52:53], v[120:121]
	v_add_f64 v[18:19], v[10:11], -v[98:99]
	v_add_f64 v[20:21], v[12:13], -v[100:101]
	v_fmac_f64_e32 v[104:105], v[32:33], v[216:217]
	v_fma_f64 v[114:115], v[50:51], v[118:119], -v[14:15]
	v_mul_f64 v[116:117], v[50:51], v[120:121]
	v_accvgpr_write_b32 a68, v118
	s_waitcnt lgkmcnt(5)
	v_mul_f64 v[14:15], v[64:65], v[218:219]
	v_fma_f64 v[30:31], v[10:11], 2.0, -v[18:19]
	v_fma_f64 v[32:33], v[12:13], 2.0, -v[20:21]
	ds_read_b128 v[10:13], v148 offset:8064
	v_accvgpr_write_b32 a69, v119
	v_accvgpr_write_b32 a70, v120
	;; [unrolled: 1-line block ×3, first 2 shown]
	v_fmac_f64_e32 v[116:117], v[52:53], v[118:119]
	v_fma_f64 v[118:119], v[62:63], v[216:217], -v[14:15]
	s_waitcnt vmcnt(2) lgkmcnt(5)
	v_mul_f64 v[14:15], v[68:69], v[128:129]
	v_fma_f64 v[122:123], v[66:67], v[126:127], -v[14:15]
	v_mul_f64 v[124:125], v[66:67], v[128:129]
	v_accvgpr_write_b32 a60, v126
	s_waitcnt lgkmcnt(4)
	v_mul_f64 v[14:15], v[72:73], v[218:219]
	v_accvgpr_write_b32 a61, v127
	v_accvgpr_write_b32 a62, v128
	;; [unrolled: 1-line block ×3, first 2 shown]
	v_fmac_f64_e32 v[124:125], v[68:69], v[126:127]
	v_fma_f64 v[126:127], v[70:71], v[216:217], -v[14:15]
	v_mul_f64 v[128:129], v[70:71], v[218:219]
	s_waitcnt vmcnt(1) lgkmcnt(3)
	v_mul_f64 v[14:15], v[76:77], v[136:137]
	v_accvgpr_write_b32 a56, v134
	v_fmac_f64_e32 v[128:129], v[72:73], v[216:217]
	v_fma_f64 v[130:131], v[74:75], v[134:135], -v[14:15]
	v_mul_f64 v[132:133], v[74:75], v[136:137]
	v_accvgpr_write_b32 a57, v135
	v_accvgpr_write_b32 a58, v136
	;; [unrolled: 1-line block ×3, first 2 shown]
	s_waitcnt lgkmcnt(2)
	v_mul_f64 v[14:15], v[90:91], v[218:219]
	v_mul_f64 v[136:137], v[88:89], v[218:219]
	s_waitcnt vmcnt(0)
	v_accvgpr_write_b32 a157, v141
	v_fmac_f64_e32 v[132:133], v[76:77], v[134:135]
	ds_read_b128 v[74:77], v148 offset:9072
	v_fma_f64 v[134:135], v[88:89], v[216:217], -v[14:15]
	v_fmac_f64_e32 v[136:137], v[90:91], v[216:217]
	s_waitcnt lgkmcnt(2)
	v_mul_f64 v[14:15], v[94:95], v[140:141]
	v_accvgpr_write_b32 a156, v140
	v_mul_f64 v[140:141], v[92:93], v[140:141]
	s_waitcnt lgkmcnt(1)
	v_add_f64 v[88:89], v[10:11], -v[126:127]
	v_add_f64 v[90:91], v[12:13], -v[128:129]
	v_fma_f64 v[138:139], v[92:93], v[154:155], -v[14:15]
	v_fmac_f64_e32 v[140:141], v[94:95], v[154:155]
	v_add_f64 v[34:35], v[22:23], -v[102:103]
	v_fma_f64 v[92:93], v[10:11], 2.0, -v[88:89]
	v_fma_f64 v[94:95], v[12:13], 2.0, -v[90:91]
	ds_read_b128 v[10:13], v148 offset:10080
	ds_read_b128 v[100:103], v148 offset:11088
	v_fmac_f64_e32 v[96:97], v[16:17], v[216:217]
	v_mul_f64 v[112:113], v[46:47], v[218:219]
	v_add_f64 v[14:15], v[6:7], -v[78:79]
	v_add_f64 v[16:17], v[8:9], -v[96:97]
	;; [unrolled: 1-line block ×3, first 2 shown]
	s_waitcnt lgkmcnt(1)
	v_add_f64 v[106:107], v[12:13], -v[136:137]
	v_fma_f64 v[6:7], v[6:7], 2.0, -v[14:15]
	v_fma_f64 v[8:9], v[8:9], 2.0, -v[16:17]
	v_add_f64 v[50:51], v[38:39], -v[110:111]
	v_fma_f64 v[110:111], v[12:13], 2.0, -v[106:107]
	s_waitcnt lgkmcnt(0)
	; wave barrier
	s_waitcnt lgkmcnt(0)
	ds_write_b128 v5, v[14:17] offset:32
	v_lshlrev_b32_e32 v14, 1, v85
	v_lshlrev_b32_e32 v13, 1, v83
	v_add_f64 v[36:37], v[24:25], -v[104:105]
	ds_write_b128 v5, v[6:9]
	buffer_store_dword v5, off, s[36:39], 0 offset:248 ; 4-byte Folded Spill
	v_and_or_b32 v5, v14, s1, v142
	v_and_or_b32 v6, v13, s0, v87
	v_fma_f64 v[22:23], v[22:23], 2.0, -v[34:35]
	v_fma_f64 v[24:25], v[24:25], 2.0, -v[36:37]
	v_lshlrev_b32_e32 v5, 4, v5
	v_lshlrev_b32_e32 v12, 1, v150
	;; [unrolled: 1-line block ×3, first 2 shown]
	v_fmac_f64_e32 v[112:113], v[48:49], v[216:217]
	v_add_f64 v[48:49], v[28:29], -v[108:109]
	v_add_f64 v[104:105], v[10:11], -v[134:135]
	ds_write_b128 v5, v[30:33]
	ds_write_b128 v5, v[18:21] offset:32
	ds_write_b128 v15, v[22:25]
	buffer_store_dword v15, off, s[36:39], 0 offset:264 ; 4-byte Folded Spill
	ds_write_b128 v15, v[34:37] offset:32
	v_and_or_b32 v15, v12, s0, v144
	v_fma_f64 v[26:27], v[26:27], 2.0, -v[46:47]
	v_fma_f64 v[28:29], v[28:29], 2.0, -v[48:49]
	;; [unrolled: 1-line block ×3, first 2 shown]
	v_lshlrev_b32_e32 v11, 1, v81
	v_lshlrev_b32_e32 v15, 4, v15
	s_movk_i32 s0, 0x3fc
	v_add_f64 v[52:53], v[40:41], -v[112:113]
	ds_write_b128 v15, v[26:29]
	buffer_store_dword v15, off, s[36:39], 0 offset:268 ; 4-byte Folded Spill
	ds_write_b128 v15, v[46:49] offset:32
	v_and_or_b32 v15, v11, s0, v87
	v_mul_f64 v[120:121], v[62:63], v[218:219]
	v_fma_f64 v[38:39], v[38:39], 2.0, -v[50:51]
	v_fma_f64 v[40:41], v[40:41], 2.0, -v[52:53]
	v_lshlrev_b32_e32 v10, 1, v84
	v_lshlrev_b32_e32 v15, 4, v15
	s_movk_i32 s1, 0x2fc
	v_fmac_f64_e32 v[120:121], v[64:65], v[216:217]
	v_add_f64 v[62:63], v[42:43], -v[114:115]
	v_add_f64 v[64:65], v[44:45], -v[116:117]
	ds_write_b128 v15, v[38:41]
	buffer_store_dword v15, off, s[36:39], 0 offset:260 ; 4-byte Folded Spill
	ds_write_b128 v15, v[50:53] offset:32
	v_and_or_b32 v15, v10, s1, v145
	v_fma_f64 v[42:43], v[42:43], 2.0, -v[62:63]
	v_fma_f64 v[44:45], v[44:45], 2.0, -v[64:65]
	v_lshlrev_b32_e32 v9, 1, v82
	v_lshlrev_b32_e32 v15, 4, v15
	v_add_f64 v[66:67], v[54:55], -v[118:119]
	v_add_f64 v[68:69], v[56:57], -v[120:121]
	ds_write_b128 v15, v[42:45]
	buffer_store_dword v15, off, s[36:39], 0 offset:256 ; 4-byte Folded Spill
	ds_write_b128 v15, v[62:65] offset:32
	v_and_or_b32 v15, v9, s0, v87
	v_fma_f64 v[54:55], v[54:55], 2.0, -v[66:67]
	v_fma_f64 v[56:57], v[56:57], 2.0, -v[68:69]
	v_lshlrev_b32_e32 v8, 1, v80
	v_lshlrev_b32_e32 v15, 4, v15
	v_add_f64 v[70:71], v[58:59], -v[122:123]
	v_add_f64 v[72:73], v[60:61], -v[124:125]
	ds_write_b128 v15, v[54:57]
	buffer_store_dword v15, off, s[36:39], 0 offset:244 ; 4-byte Folded Spill
	ds_write_b128 v15, v[66:69] offset:32
	v_and_or_b32 v15, v8, s0, v146
	v_fma_f64 v[58:59], v[58:59], 2.0, -v[70:71]
	v_fma_f64 v[60:61], v[60:61], 2.0, -v[72:73]
	v_lshlrev_b32_e32 v15, 4, v15
	s_movk_i32 s0, 0x7fc
	ds_write_b128 v15, v[58:61]
	buffer_store_dword v15, off, s[36:39], 0 offset:176 ; 4-byte Folded Spill
	ds_write_b128 v15, v[70:73] offset:32
	v_and_or_b32 v15, v3, s0, v87
	v_lshlrev_b32_e32 v7, 1, v2
	v_lshlrev_b32_e32 v15, 4, v15
	s_movk_i32 s0, 0x4fc
	v_add_f64 v[96:97], v[74:75], -v[130:131]
	v_add_f64 v[98:99], v[76:77], -v[132:133]
	ds_write_b128 v15, v[92:95]
	buffer_store_dword v15, off, s[36:39], 0 offset:172 ; 4-byte Folded Spill
	ds_write_b128 v15, v[88:91] offset:32
	v_and_or_b32 v15, v7, s0, v147
	v_fma_f64 v[74:75], v[74:75], 2.0, -v[96:97]
	v_fma_f64 v[76:77], v[76:77], 2.0, -v[98:99]
	buffer_store_dword v5, off, s[36:39], 0 offset:252 ; 4-byte Folded Spill
	v_lshlrev_b32_e32 v5, 1, v1
	v_lshlrev_b32_e32 v15, 4, v15
	s_movk_i32 s0, 0x5fc
	ds_write_b128 v15, v[74:77]
	buffer_store_dword v15, off, s[36:39], 0 offset:168 ; 4-byte Folded Spill
	ds_write_b128 v15, v[96:99] offset:32
	v_and_or_b32 v15, v5, s0, v87
	v_lshlrev_b32_e32 v6, 1, v0
	v_lshlrev_b32_e32 v15, 4, v15
	v_add_f64 v[112:113], v[100:101], -v[138:139]
	v_add_f64 v[114:115], v[102:103], -v[140:141]
	ds_write_b128 v15, v[108:111]
	buffer_store_dword v15, off, s[36:39], 0 offset:132 ; 4-byte Folded Spill
	ds_write_b128 v15, v[104:107] offset:32
	v_and_or_b32 v15, v6, s0, v143
	v_fma_f64 v[100:101], v[100:101], 2.0, -v[112:113]
	v_fma_f64 v[102:103], v[102:103], 2.0, -v[114:115]
	v_lshlrev_b32_e32 v15, 4, v15
	ds_write_b128 v15, v[100:103]
	buffer_store_dword v15, off, s[36:39], 0 offset:128 ; 4-byte Folded Spill
	ds_write_b128 v15, v[112:115] offset:32
	v_and_b32_e32 v15, 3, v152
	v_and_b32_e32 v2, 3, v2
	v_lshlrev_b32_e32 v16, 4, v15
	v_and_b32_e32 v87, 3, v85
	v_lshlrev_b32_e32 v42, 4, v2
	s_waitcnt lgkmcnt(0)
	; wave barrier
	s_waitcnt lgkmcnt(0)
	v_lshlrev_b32_e32 v17, 4, v87
	global_load_dwordx4 v[116:119], v16, s[14:15] offset:32
	global_load_dwordx2 v[46:47], v17, s[14:15] offset:32
	global_load_dwordx4 v[64:67], v42, s[14:15] offset:32
	v_and_b32_e32 v125, 3, v1
	v_and_b32_e32 v127, 3, v0
	;; [unrolled: 1-line block ×3, first 2 shown]
	v_lshlrev_b32_e32 v50, 4, v125
	v_and_b32_e32 v126, 3, v150
	v_lshlrev_b32_e32 v51, 4, v127
	v_lshlrev_b32_e32 v16, 4, v124
	global_load_dwordx4 v[68:71], v50, s[14:15] offset:32
	global_load_dwordx2 v[52:53], v16, s[14:15] offset:32
	global_load_dwordx4 v[88:91], v51, s[14:15] offset:32
	v_lshlrev_b32_e32 v0, 4, v126
	global_load_dwordx2 v[56:57], v0, s[14:15] offset:32
	v_and_b32_e32 v128, 3, v84
	v_lshlrev_b32_e32 v0, 4, v128
	v_and_b32_e32 v129, 3, v82
	global_load_dwordx4 v[72:75], v0, s[14:15] offset:32
	v_lshlrev_b32_e32 v0, 4, v129
	global_load_dwordx4 v[76:79], v0, s[14:15] offset:32
	ds_read_b128 v[16:19], v148 offset:12096
	ds_read_b128 v[20:23], v148 offset:13104
	;; [unrolled: 1-line block ×6, first 2 shown]
	global_load_dwordx2 v[54:55], v42, s[14:15] offset:40
	global_load_dwordx2 v[92:93], v50, s[14:15] offset:40
	v_and_b32_e32 v130, 3, v80
	s_movk_i32 s0, 0x78
	s_movk_i32 s1, 0x2f8
	v_accvgpr_write_b32 a241, v157
	v_accvgpr_write_b32 a240, v156
	;; [unrolled: 1-line block ×4, first 2 shown]
	s_waitcnt vmcnt(10) lgkmcnt(5)
	v_mul_f64 v[0:1], v[18:19], v[118:119]
	v_fma_f64 v[0:1], v[16:17], v[116:117], -v[0:1]
	v_mul_f64 v[40:41], v[16:17], v[118:119]
	s_waitcnt vmcnt(8) lgkmcnt(4)
	v_mul_f64 v[16:17], v[22:23], v[66:67]
	v_fma_f64 v[42:43], v[20:21], v[46:47], -v[16:17]
	v_mul_f64 v[44:45], v[20:21], v[66:67]
	v_accvgpr_write_b32 a143, v47
	v_accvgpr_write_b32 a142, v46
	v_fmac_f64_e32 v[44:45], v[22:23], v[46:47]
	s_waitcnt vmcnt(7) lgkmcnt(3)
	v_mul_f64 v[16:17], v[26:27], v[70:71]
	s_waitcnt vmcnt(6)
	v_fma_f64 v[46:47], v[24:25], v[52:53], -v[16:17]
	v_mul_f64 v[48:49], v[24:25], v[70:71]
	v_accvgpr_write_b32 a237, v53
	s_waitcnt vmcnt(5) lgkmcnt(2)
	v_mul_f64 v[16:17], v[30:31], v[90:91]
	v_accvgpr_write_b32 a236, v52
	v_fmac_f64_e32 v[48:49], v[26:27], v[52:53]
	global_load_dwordx2 v[26:27], v51, s[14:15] offset:40
	s_waitcnt vmcnt(5)
	v_fma_f64 v[50:51], v[28:29], v[56:57], -v[16:17]
	v_mul_f64 v[52:53], v[28:29], v[90:91]
	v_accvgpr_write_b32 a243, v57
	s_waitcnt lgkmcnt(1)
	v_mul_f64 v[16:17], v[34:35], v[118:119]
	v_fmac_f64_e32 v[40:41], v[18:19], v[116:117]
	v_accvgpr_write_b32 a242, v56
	v_fmac_f64_e32 v[52:53], v[30:31], v[56:57]
	v_fma_f64 v[56:57], v[32:33], v[116:117], -v[16:17]
	ds_read_b128 v[16:19], v148 offset:18144
	s_waitcnt vmcnt(4) lgkmcnt(1)
	v_mul_f64 v[20:21], v[38:39], v[74:75]
	v_fma_f64 v[60:61], v[36:37], v[72:73], -v[20:21]
	ds_read_b128 v[20:23], v148 offset:19152
	v_mul_f64 v[62:63], v[36:37], v[74:75]
	v_accvgpr_write_b32 a219, v75
	s_waitcnt vmcnt(3) lgkmcnt(1)
	v_mul_f64 v[24:25], v[18:19], v[78:79]
	v_accvgpr_write_b32 a218, v74
	v_accvgpr_write_b32 a217, v73
	;; [unrolled: 1-line block ×3, first 2 shown]
	v_fmac_f64_e32 v[62:63], v[38:39], v[72:73]
	v_fma_f64 v[72:73], v[16:17], v[76:77], -v[24:25]
	v_mul_f64 v[74:75], v[16:17], v[78:79]
	v_lshlrev_b32_e32 v16, 4, v130
	global_load_dwordx4 v[28:31], v16, s[14:15] offset:32
	v_accvgpr_write_b32 a223, v79
	v_accvgpr_write_b32 a222, v78
	;; [unrolled: 1-line block ×4, first 2 shown]
	v_fmac_f64_e32 v[74:75], v[18:19], v[76:77]
	v_mul_f64 v[58:59], v[32:33], v[118:119]
	v_fmac_f64_e32 v[58:59], v[34:35], v[116:117]
	s_waitcnt vmcnt(3)
	v_accvgpr_write_b32 a193, v55
	v_accvgpr_write_b32 a127, v67
	s_waitcnt vmcnt(2)
	v_accvgpr_write_b32 a211, v93
	v_accvgpr_write_b32 a131, v71
	;; [unrolled: 1-line block ×14, first 2 shown]
	s_waitcnt vmcnt(1)
	v_accvgpr_write_b32 a187, v27
	v_accvgpr_write_b32 a186, v26
	s_waitcnt vmcnt(0) lgkmcnt(0)
	v_mul_f64 v[16:17], v[22:23], v[30:31]
	v_mul_f64 v[78:79], v[20:21], v[30:31]
	v_fma_f64 v[76:77], v[20:21], v[28:29], -v[16:17]
	v_fmac_f64_e32 v[78:79], v[22:23], v[28:29]
	ds_read_b128 v[16:19], v148 offset:20160
	ds_read_b128 v[20:23], v148 offset:21168
	v_accvgpr_write_b32 a151, v31
	v_accvgpr_write_b32 a150, v30
	;; [unrolled: 1-line block ×3, first 2 shown]
	s_waitcnt lgkmcnt(1)
	v_mul_f64 v[24:25], v[18:19], v[118:119]
	v_fma_f64 v[96:97], v[16:17], v[116:117], -v[24:25]
	v_mul_f64 v[98:99], v[16:17], v[118:119]
	s_waitcnt lgkmcnt(0)
	v_mul_f64 v[16:17], v[22:23], v[54:55]
	v_mul_f64 v[102:103], v[20:21], v[54:55]
	v_fmac_f64_e32 v[98:99], v[18:19], v[116:117]
	v_fma_f64 v[100:101], v[20:21], v[64:65], -v[16:17]
	v_fmac_f64_e32 v[102:103], v[22:23], v[64:65]
	ds_read_b128 v[16:19], v148 offset:22176
	ds_read_b128 v[20:23], v148 offset:23184
	v_accvgpr_write_b32 a148, v28
	s_waitcnt lgkmcnt(1)
	v_mul_f64 v[24:25], v[18:19], v[92:93]
	v_fma_f64 v[112:113], v[16:17], v[68:69], -v[24:25]
	v_mul_f64 v[114:115], v[16:17], v[92:93]
	s_waitcnt lgkmcnt(0)
	v_mul_f64 v[16:17], v[22:23], v[26:27]
	v_mul_f64 v[122:123], v[20:21], v[26:27]
	v_fmac_f64_e32 v[114:115], v[18:19], v[68:69]
	v_fma_f64 v[120:121], v[20:21], v[88:89], -v[16:17]
	v_fmac_f64_e32 v[122:123], v[22:23], v[88:89]
	ds_read_b128 v[16:19], v148
	ds_read_b128 v[20:23], v148 offset:1008
	ds_read_b128 v[32:35], v148 offset:2016
	;; [unrolled: 1-line block ×3, first 2 shown]
	s_waitcnt lgkmcnt(3)
	v_add_f64 v[24:25], v[16:17], -v[0:1]
	v_add_f64 v[26:27], v[18:19], -v[40:41]
	v_and_or_b32 v0, v4, s0, v15
	v_fma_f64 v[16:17], v[16:17], 2.0, -v[24:25]
	v_fma_f64 v[18:19], v[18:19], 2.0, -v[26:27]
	v_lshlrev_b32_e32 v0, 4, v0
	s_movk_i32 s0, 0xf8
	s_waitcnt lgkmcnt(2)
	v_add_f64 v[28:29], v[20:21], -v[42:43]
	v_add_f64 v[30:31], v[22:23], -v[44:45]
	s_waitcnt lgkmcnt(1)
	v_add_f64 v[40:41], v[32:33], -v[46:47]
	v_add_f64 v[42:43], v[34:35], -v[48:49]
	;; [unrolled: 3-line block ×3, first 2 shown]
	ds_read_b128 v[48:51], v148 offset:4032
	ds_read_b128 v[52:55], v148 offset:5040
	;; [unrolled: 1-line block ×8, first 2 shown]
	s_waitcnt lgkmcnt(0)
	; wave barrier
	s_waitcnt lgkmcnt(0)
	ds_write_b128 v0, v[16:19]
	buffer_store_dword v0, off, s[36:39], 0 offset:84 ; 4-byte Folded Spill
	ds_write_b128 v0, v[24:27] offset:64
	v_and_or_b32 v0, v14, s0, v87
	v_fma_f64 v[20:21], v[20:21], 2.0, -v[28:29]
	v_fma_f64 v[22:23], v[22:23], 2.0, -v[30:31]
	v_lshlrev_b32_e32 v0, 4, v0
	s_movk_i32 s0, 0x1f8
	ds_write_b128 v0, v[20:23]
	buffer_store_dword v0, off, s[36:39], 0 offset:104 ; 4-byte Folded Spill
	ds_write_b128 v0, v[28:31] offset:64
	v_and_or_b32 v0, v13, s0, v124
	v_fma_f64 v[32:33], v[32:33], 2.0, -v[40:41]
	v_fma_f64 v[34:35], v[34:35], 2.0, -v[42:43]
	v_lshlrev_b32_e32 v0, 4, v0
	ds_write_b128 v0, v[32:35]
	buffer_store_dword v0, off, s[36:39], 0 offset:80 ; 4-byte Folded Spill
	ds_write_b128 v0, v[40:43] offset:64
	v_and_or_b32 v0, v12, s0, v126
	v_fma_f64 v[36:37], v[36:37], 2.0, -v[44:45]
	v_fma_f64 v[38:39], v[38:39], 2.0, -v[46:47]
	v_lshlrev_b32_e32 v0, 4, v0
	s_movk_i32 s0, 0x3f8
	v_add_f64 v[56:57], v[48:49], -v[56:57]
	v_add_f64 v[58:59], v[50:51], -v[58:59]
	ds_write_b128 v0, v[36:39]
	buffer_store_dword v0, off, s[36:39], 0 offset:52 ; 4-byte Folded Spill
	ds_write_b128 v0, v[44:47] offset:64
	v_and_or_b32 v0, v11, s0, v15
	v_fma_f64 v[48:49], v[48:49], 2.0, -v[56:57]
	v_fma_f64 v[50:51], v[50:51], 2.0, -v[58:59]
	v_lshlrev_b32_e32 v0, 4, v0
	v_add_f64 v[60:61], v[52:53], -v[60:61]
	v_add_f64 v[62:63], v[54:55], -v[62:63]
	ds_write_b128 v0, v[48:51]
	buffer_store_dword v0, off, s[36:39], 0 offset:48 ; 4-byte Folded Spill
	ds_write_b128 v0, v[56:59] offset:64
	v_and_or_b32 v0, v10, s1, v128
	v_fma_f64 v[52:53], v[52:53], 2.0, -v[60:61]
	v_fma_f64 v[54:55], v[54:55], 2.0, -v[62:63]
	v_lshlrev_b32_e32 v0, 4, v0
	;; [unrolled: 9-line block ×4, first 2 shown]
	s_movk_i32 s0, 0x7f8
	v_add_f64 v[96:97], v[88:89], -v[96:97]
	v_add_f64 v[98:99], v[90:91], -v[98:99]
	ds_write_b128 v0, v[68:71]
	buffer_store_dword v0, off, s[36:39], 0 offset:32 ; 4-byte Folded Spill
	ds_write_b128 v0, v[76:79] offset:64
	v_and_or_b32 v0, v3, s0, v15
	v_fma_f64 v[88:89], v[88:89], 2.0, -v[96:97]
	v_fma_f64 v[90:91], v[90:91], 2.0, -v[98:99]
	v_lshlrev_b32_e32 v0, 4, v0
	s_movk_i32 s0, 0x4f8
	v_add_f64 v[100:101], v[92:93], -v[100:101]
	v_add_f64 v[102:103], v[94:95], -v[102:103]
	ds_write_b128 v0, v[88:91]
	buffer_store_dword v0, off, s[36:39], 0 offset:24 ; 4-byte Folded Spill
	ds_write_b128 v0, v[96:99] offset:64
	v_and_or_b32 v0, v7, s0, v2
	v_fma_f64 v[92:93], v[92:93], 2.0, -v[100:101]
	v_fma_f64 v[94:95], v[94:95], 2.0, -v[102:103]
	v_lshlrev_b32_e32 v0, 4, v0
	;; [unrolled: 10-line block ×3, first 2 shown]
	v_add_f64 v[120:121], v[108:109], -v[120:121]
	v_add_f64 v[122:123], v[110:111], -v[122:123]
	ds_write_b128 v0, v[104:107]
	buffer_store_dword v0, off, s[36:39], 0 offset:16 ; 4-byte Folded Spill
	ds_write_b128 v0, v[112:115] offset:64
	v_and_or_b32 v0, v6, s0, v127
	v_fma_f64 v[108:109], v[108:109], 2.0, -v[120:121]
	v_fma_f64 v[110:111], v[110:111], 2.0, -v[122:123]
	v_lshlrev_b32_e32 v0, 4, v0
	v_and_b32_e32 v4, 7, v152
	ds_write_b128 v0, v[108:111]
	buffer_store_dword v0, off, s[36:39], 0 offset:20 ; 4-byte Folded Spill
	ds_write_b128 v0, v[120:123] offset:64
	v_lshlrev_b32_e32 v0, 5, v4
	s_waitcnt lgkmcnt(0)
	; wave barrier
	s_waitcnt lgkmcnt(0)
	global_load_dwordx4 v[26:29], v0, s[14:15] offset:96
	global_load_dwordx4 v[22:25], v0, s[14:15] offset:112
	v_and_b32_e32 v87, 7, v85
	v_lshlrev_b32_e32 v0, 5, v87
	global_load_dwordx4 v[34:37], v0, s[14:15] offset:96
	global_load_dwordx4 v[30:33], v0, s[14:15] offset:112
	ds_read_b128 v[0:3], v148 offset:8064
	ds_read_b128 v[6:9], v148 offset:9072
	;; [unrolled: 1-line block ×4, first 2 shown]
	v_and_b32_e32 v88, 7, v83
	v_lshlrev_b32_e32 v5, 5, v88
	v_and_b32_e32 v89, 7, v150
	v_and_b32_e32 v90, 7, v81
	;; [unrolled: 1-line block ×5, first 2 shown]
	s_mov_b32 s0, 0xe8584caa
	s_mov_b32 s1, 0x3febb67a
	;; [unrolled: 1-line block ×3, first 2 shown]
	s_waitcnt vmcnt(3) lgkmcnt(3)
	v_mul_f64 v[14:15], v[2:3], v[28:29]
	v_fma_f64 v[60:61], v[0:1], v[26:27], -v[14:15]
	v_mul_f64 v[66:67], v[0:1], v[28:29]
	s_waitcnt vmcnt(2) lgkmcnt(1)
	v_mul_f64 v[0:1], v[12:13], v[24:25]
	v_fma_f64 v[72:73], v[10:11], v[22:23], -v[0:1]
	v_mul_f64 v[78:79], v[10:11], v[24:25]
	s_waitcnt vmcnt(1)
	v_mul_f64 v[0:1], v[8:9], v[36:37]
	v_accvgpr_write_b32 a117, v37
	v_accvgpr_write_b32 a109, v29
	v_fmac_f64_e32 v[78:79], v[12:13], v[22:23]
	v_fma_f64 v[12:13], v[6:7], v[34:35], -v[0:1]
	v_mul_f64 v[16:17], v[6:7], v[36:37]
	v_accvgpr_write_b32 a116, v36
	v_accvgpr_write_b32 a115, v35
	;; [unrolled: 1-line block ×3, first 2 shown]
	s_waitcnt vmcnt(0) lgkmcnt(0)
	v_mul_f64 v[0:1], v[20:21], v[32:33]
	v_mul_f64 v[36:37], v[18:19], v[32:33]
	v_accvgpr_write_b32 a108, v28
	v_accvgpr_write_b32 a107, v27
	;; [unrolled: 1-line block ×3, first 2 shown]
	v_fma_f64 v[28:29], v[18:19], v[30:31], -v[0:1]
	v_fmac_f64_e32 v[36:37], v[20:21], v[30:31]
	global_load_dwordx4 v[18:21], v5, s[14:15] offset:96
	v_accvgpr_write_b32 a113, v33
	v_fmac_f64_e32 v[66:67], v[2:3], v[26:27]
	v_fmac_f64_e32 v[16:17], v[8:9], v[34:35]
	v_accvgpr_write_b32 a112, v32
	v_accvgpr_write_b32 a111, v31
	;; [unrolled: 1-line block ×3, first 2 shown]
	ds_read_b128 v[0:3], v148 offset:10080
	ds_read_b128 v[6:9], v148 offset:11088
	global_load_dwordx4 v[30:33], v5, s[14:15] offset:112
	v_accvgpr_write_b32 a105, v25
	v_accvgpr_write_b32 a104, v24
	;; [unrolled: 1-line block ×4, first 2 shown]
	v_lshlrev_b32_e32 v5, 5, v90
	s_waitcnt vmcnt(1) lgkmcnt(1)
	v_mul_f64 v[10:11], v[2:3], v[20:21]
	v_mul_f64 v[24:25], v[0:1], v[20:21]
	v_accvgpr_write_b32 a135, v21
	v_fma_f64 v[14:15], v[0:1], v[18:19], -v[10:11]
	v_accvgpr_write_b32 a134, v20
	v_accvgpr_write_b32 a133, v19
	;; [unrolled: 1-line block ×3, first 2 shown]
	v_fmac_f64_e32 v[24:25], v[2:3], v[18:19]
	ds_read_b128 v[0:3], v148 offset:18144
	ds_read_b128 v[20:23], v148 offset:19152
	s_waitcnt vmcnt(0)
	v_accvgpr_write_b32 a147, v33
	v_accvgpr_write_b32 a146, v32
	;; [unrolled: 1-line block ×3, first 2 shown]
	s_waitcnt lgkmcnt(1)
	v_mul_f64 v[50:51], v[0:1], v[32:33]
	v_mul_f64 v[10:11], v[2:3], v[32:33]
	v_fmac_f64_e32 v[50:51], v[2:3], v[30:31]
	v_lshlrev_b32_e32 v2, 5, v89
	v_accvgpr_write_b32 a144, v30
	global_load_dwordx4 v[32:35], v2, s[14:15] offset:96
	v_fma_f64 v[40:41], v[0:1], v[30:31], -v[10:11]
	s_waitcnt vmcnt(0)
	v_mul_f64 v[0:1], v[8:9], v[34:35]
	v_mul_f64 v[30:31], v[6:7], v[34:35]
	v_fma_f64 v[18:19], v[6:7], v[32:33], -v[0:1]
	v_fmac_f64_e32 v[30:31], v[8:9], v[32:33]
	global_load_dwordx4 v[6:9], v2, s[14:15] offset:112
	v_accvgpr_write_b32 a155, v35
	v_accvgpr_write_b32 a154, v34
	;; [unrolled: 1-line block ×4, first 2 shown]
	s_waitcnt vmcnt(0) lgkmcnt(0)
	v_mul_f64 v[0:1], v[22:23], v[8:9]
	v_mul_f64 v[52:53], v[20:21], v[8:9]
	v_fma_f64 v[42:43], v[20:21], v[6:7], -v[0:1]
	v_fmac_f64_e32 v[52:53], v[22:23], v[6:7]
	global_load_dwordx4 v[20:23], v5, s[14:15] offset:96
	v_accvgpr_write_b32 a161, v9
	v_accvgpr_write_b32 a160, v8
	;; [unrolled: 1-line block ×4, first 2 shown]
	ds_read_b128 v[0:3], v148 offset:12096
	ds_read_b128 v[6:9], v148 offset:13104
	global_load_dwordx4 v[44:47], v5, s[14:15] offset:112
	v_lshlrev_b32_e32 v5, 5, v92
	s_waitcnt vmcnt(1) lgkmcnt(1)
	v_mul_f64 v[10:11], v[2:3], v[22:23]
	v_mul_f64 v[34:35], v[0:1], v[22:23]
	v_accvgpr_write_b32 a169, v23
	v_fma_f64 v[26:27], v[0:1], v[20:21], -v[10:11]
	v_accvgpr_write_b32 a168, v22
	v_accvgpr_write_b32 a167, v21
	;; [unrolled: 1-line block ×3, first 2 shown]
	v_fmac_f64_e32 v[34:35], v[2:3], v[20:21]
	ds_read_b128 v[0:3], v148 offset:20160
	ds_read_b128 v[20:23], v148 offset:21168
	s_waitcnt vmcnt(0)
	v_accvgpr_write_b32 a177, v47
	v_accvgpr_write_b32 a176, v46
	;; [unrolled: 1-line block ×3, first 2 shown]
	s_waitcnt lgkmcnt(1)
	v_mul_f64 v[62:63], v[0:1], v[46:47]
	v_mul_f64 v[10:11], v[2:3], v[46:47]
	v_fmac_f64_e32 v[62:63], v[2:3], v[44:45]
	v_lshlrev_b32_e32 v2, 5, v91
	v_accvgpr_write_b32 a174, v44
	global_load_dwordx4 v[46:49], v2, s[14:15] offset:96
	v_fma_f64 v[54:55], v[0:1], v[44:45], -v[10:11]
	s_waitcnt vmcnt(0)
	v_mul_f64 v[0:1], v[8:9], v[48:49]
	v_mul_f64 v[44:45], v[6:7], v[48:49]
	v_fma_f64 v[32:33], v[6:7], v[46:47], -v[0:1]
	v_fmac_f64_e32 v[44:45], v[8:9], v[46:47]
	global_load_dwordx4 v[6:9], v2, s[14:15] offset:112
	v_accvgpr_write_b32 a181, v49
	v_accvgpr_write_b32 a180, v48
	;; [unrolled: 1-line block ×4, first 2 shown]
	s_waitcnt vmcnt(0) lgkmcnt(0)
	v_mul_f64 v[0:1], v[22:23], v[8:9]
	v_mul_f64 v[64:65], v[20:21], v[8:9]
	v_fma_f64 v[56:57], v[20:21], v[6:7], -v[0:1]
	v_fmac_f64_e32 v[64:65], v[22:23], v[6:7]
	global_load_dwordx4 v[20:23], v5, s[14:15] offset:96
	v_accvgpr_write_b32 a191, v9
	v_accvgpr_write_b32 a190, v8
	;; [unrolled: 1-line block ×4, first 2 shown]
	ds_read_b128 v[0:3], v148 offset:14112
	ds_read_b128 v[6:9], v148 offset:15120
	global_load_dwordx4 v[94:97], v5, s[14:15] offset:112
	v_lshrrev_b32_e32 v5, 3, v152
	v_mul_u32_u24_e32 v5, 24, v5
	v_or_b32_e32 v114, v5, v4
	v_lshlrev_b32_e32 v120, 4, v114
	v_add_f64 v[114:115], v[66:67], -v[78:79]
	s_waitcnt vmcnt(1) lgkmcnt(1)
	v_mul_f64 v[10:11], v[2:3], v[22:23]
	v_mul_f64 v[48:49], v[0:1], v[22:23]
	v_accvgpr_write_b32 a197, v23
	v_fma_f64 v[38:39], v[0:1], v[20:21], -v[10:11]
	v_accvgpr_write_b32 a196, v22
	v_accvgpr_write_b32 a195, v21
	v_accvgpr_write_b32 a194, v20
	v_fmac_f64_e32 v[48:49], v[2:3], v[20:21]
	ds_read_b128 v[0:3], v148 offset:22176
	ds_read_b128 v[20:23], v148 offset:23184
	s_waitcnt vmcnt(0)
	v_accvgpr_write_b32 a209, v97
	v_accvgpr_write_b32 a208, v96
	;; [unrolled: 1-line block ×3, first 2 shown]
	s_waitcnt lgkmcnt(1)
	v_mul_f64 v[74:75], v[0:1], v[96:97]
	v_mul_f64 v[10:11], v[2:3], v[96:97]
	v_fmac_f64_e32 v[74:75], v[2:3], v[94:95]
	v_lshlrev_b32_e32 v2, 5, v93
	v_fma_f64 v[68:69], v[0:1], v[94:95], -v[10:11]
	v_accvgpr_write_b32 a206, v94
	global_load_dwordx4 v[94:97], v2, s[14:15] offset:96
	s_waitcnt vmcnt(0)
	v_mul_f64 v[0:1], v[8:9], v[96:97]
	v_mul_f64 v[58:59], v[6:7], v[96:97]
	v_fma_f64 v[46:47], v[6:7], v[94:95], -v[0:1]
	v_fmac_f64_e32 v[58:59], v[8:9], v[94:95]
	global_load_dwordx4 v[6:9], v2, s[14:15] offset:112
	v_accvgpr_write_b32 a215, v97
	v_accvgpr_write_b32 a214, v96
	;; [unrolled: 1-line block ×4, first 2 shown]
	s_waitcnt vmcnt(0) lgkmcnt(0)
	v_mul_f64 v[0:1], v[22:23], v[8:9]
	v_mul_f64 v[76:77], v[20:21], v[8:9]
	v_accvgpr_write_b32 a231, v9
	v_fma_f64 v[70:71], v[20:21], v[6:7], -v[0:1]
	v_accvgpr_write_b32 a230, v8
	v_accvgpr_write_b32 a229, v7
	;; [unrolled: 1-line block ×3, first 2 shown]
	v_fmac_f64_e32 v[76:77], v[22:23], v[6:7]
	ds_read_b128 v[20:23], v148
	ds_read_b128 v[8:11], v148 offset:1008
	ds_read_b128 v[94:97], v148 offset:2016
	;; [unrolled: 1-line block ×7, first 2 shown]
	s_waitcnt lgkmcnt(0)
	; wave barrier
	s_waitcnt lgkmcnt(0)
	v_add_f64 v[0:1], v[20:21], v[60:61]
	v_add_f64 v[2:3], v[22:23], v[66:67]
	;; [unrolled: 1-line block ×4, first 2 shown]
	ds_write_b128 v120, v[0:3]
	v_add_f64 v[0:1], v[60:61], v[72:73]
	v_fmac_f64_e32 v[20:21], -0.5, v[0:1]
	v_add_f64 v[0:1], v[66:67], v[78:79]
	v_fmac_f64_e32 v[22:23], -0.5, v[0:1]
	v_add_f64 v[60:61], v[60:61], -v[72:73]
	v_fma_f64 v[0:1], s[0:1], v[114:115], v[20:21]
	v_fma_f64 v[2:3], s[2:3], v[60:61], v[22:23]
	v_fmac_f64_e32 v[20:21], s[2:3], v[114:115]
	v_fmac_f64_e32 v[22:23], s[0:1], v[60:61]
	ds_write_b128 v120, v[20:23] offset:256
	v_lshrrev_b32_e32 v20, 3, v85
	v_mul_u32_u24_e32 v20, 24, v20
	ds_write_b128 v120, v[0:3] offset:128
	v_add_f64 v[0:1], v[8:9], v[12:13]
	v_add_f64 v[2:3], v[10:11], v[16:17]
	v_or_b32_e32 v20, v20, v87
	v_add_f64 v[0:1], v[0:1], v[28:29]
	v_add_f64 v[2:3], v[2:3], v[36:37]
	v_lshlrev_b32_e32 v22, 4, v20
	ds_write_b128 v22, v[0:3]
	v_add_f64 v[0:1], v[12:13], v[28:29]
	v_fmac_f64_e32 v[8:9], -0.5, v[0:1]
	v_add_f64 v[0:1], v[16:17], v[36:37]
	v_add_f64 v[20:21], v[16:17], -v[36:37]
	v_fmac_f64_e32 v[10:11], -0.5, v[0:1]
	v_add_f64 v[12:13], v[12:13], -v[28:29]
	v_fma_f64 v[0:1], s[0:1], v[20:21], v[8:9]
	v_fma_f64 v[2:3], s[2:3], v[12:13], v[10:11]
	v_fmac_f64_e32 v[8:9], s[2:3], v[20:21]
	v_fmac_f64_e32 v[10:11], s[0:1], v[12:13]
	ds_write_b128 v22, v[8:11] offset:256
	v_lshrrev_b32_e32 v8, 3, v83
	v_mul_u32_u24_e32 v8, 24, v8
	ds_write_b128 v22, v[0:3] offset:128
	v_add_f64 v[0:1], v[94:95], v[14:15]
	v_add_f64 v[2:3], v[96:97], v[24:25]
	v_or_b32_e32 v8, v8, v88
	v_add_f64 v[0:1], v[0:1], v[40:41]
	v_add_f64 v[2:3], v[2:3], v[50:51]
	v_lshlrev_b32_e32 v12, 4, v8
	ds_write_b128 v12, v[0:3]
	v_add_f64 v[0:1], v[14:15], v[40:41]
	v_fmac_f64_e32 v[94:95], -0.5, v[0:1]
	v_add_f64 v[8:9], v[24:25], -v[50:51]
	v_add_f64 v[0:1], v[24:25], v[50:51]
	v_fmac_f64_e32 v[96:97], -0.5, v[0:1]
	v_add_f64 v[10:11], v[14:15], -v[40:41]
	v_fma_f64 v[0:1], s[0:1], v[8:9], v[94:95]
	v_fmac_f64_e32 v[94:95], s[2:3], v[8:9]
	v_lshrrev_b32_e32 v8, 3, v150
	v_fma_f64 v[2:3], s[2:3], v[10:11], v[96:97]
	v_mul_u32_u24_e32 v8, 24, v8
	ds_write_b128 v12, v[0:3] offset:128
	v_fmac_f64_e32 v[96:97], s[0:1], v[10:11]
	v_add_f64 v[0:1], v[98:99], v[18:19]
	v_add_f64 v[2:3], v[100:101], v[30:31]
	v_or_b32_e32 v8, v8, v89
	buffer_store_dword v12, off, s[36:39], 0 offset:4 ; 4-byte Folded Spill
	ds_write_b128 v12, v[94:97] offset:256
	v_add_f64 v[0:1], v[0:1], v[42:43]
	v_add_f64 v[2:3], v[2:3], v[52:53]
	v_lshlrev_b32_e32 v12, 4, v8
	ds_write_b128 v12, v[0:3]
	v_add_f64 v[0:1], v[18:19], v[42:43]
	v_fmac_f64_e32 v[98:99], -0.5, v[0:1]
	v_add_f64 v[8:9], v[30:31], -v[52:53]
	v_add_f64 v[0:1], v[30:31], v[52:53]
	v_fmac_f64_e32 v[100:101], -0.5, v[0:1]
	v_add_f64 v[10:11], v[18:19], -v[42:43]
	v_fma_f64 v[0:1], s[0:1], v[8:9], v[98:99]
	v_fmac_f64_e32 v[98:99], s[2:3], v[8:9]
	v_lshrrev_b32_e32 v8, 3, v81
	v_fma_f64 v[2:3], s[2:3], v[10:11], v[100:101]
	v_mul_u32_u24_e32 v8, 24, v8
	ds_write_b128 v12, v[0:3] offset:128
	v_fmac_f64_e32 v[100:101], s[0:1], v[10:11]
	v_add_f64 v[0:1], v[102:103], v[26:27]
	v_add_f64 v[2:3], v[104:105], v[34:35]
	v_or_b32_e32 v8, v8, v90
	buffer_store_dword v12, off, s[36:39], 0 offset:8 ; 4-byte Folded Spill
	ds_write_b128 v12, v[98:101] offset:256
	;; [unrolled: 22-line block ×5, first 2 shown]
	v_add_f64 v[0:1], v[0:1], v[70:71]
	v_add_f64 v[2:3], v[2:3], v[76:77]
	v_lshlrev_b32_e32 v12, 4, v8
	ds_write_b128 v12, v[0:3]
	v_add_f64 v[0:1], v[46:47], v[70:71]
	v_fmac_f64_e32 v[4:5], -0.5, v[0:1]
	v_add_f64 v[0:1], v[58:59], v[76:77]
	v_add_f64 v[8:9], v[58:59], -v[76:77]
	v_fmac_f64_e32 v[6:7], -0.5, v[0:1]
	v_add_f64 v[10:11], v[46:47], -v[70:71]
	v_fma_f64 v[0:1], s[0:1], v[8:9], v[4:5]
	v_fma_f64 v[2:3], s[2:3], v[10:11], v[6:7]
	ds_write_b128 v12, v[0:3] offset:128
	v_mul_lo_u16_sdwa v0, v152, s6 dst_sel:DWORD dst_unused:UNUSED_PAD src0_sel:BYTE_0 src1_sel:DWORD
	v_lshrrev_b16_e32 v78, 12, v0
	v_mul_lo_u16_e32 v0, 24, v78
	v_sub_u16_e32 v0, v152, v0
	v_and_b32_e32 v79, 0xff, v0
	v_fmac_f64_e32 v[4:5], s[2:3], v[8:9]
	v_fmac_f64_e32 v[6:7], s[0:1], v[10:11]
	v_lshlrev_b32_e32 v8, 5, v79
	buffer_store_dword v120, off, s[36:39], 0 offset:60 ; 4-byte Folded Spill
	buffer_store_dword v22, off, s[36:39], 0 ; 4-byte Folded Spill
	buffer_store_dword v12, off, s[36:39], 0 offset:108 ; 4-byte Folded Spill
	ds_write_b128 v12, v[4:7] offset:256
	s_waitcnt lgkmcnt(0)
	; wave barrier
	s_waitcnt lgkmcnt(0)
	global_load_dwordx4 v[10:13], v8, s[14:15] offset:352
	ds_read_b128 v[0:3], v148 offset:8064
	ds_read_b128 v[16:19], v148 offset:9072
	global_load_dwordx4 v[24:27], v8, s[14:15] offset:368
	v_mov_b32_e32 v76, s15
	v_mul_lo_u16_e32 v78, 0x48, v78
	v_and_b32_e32 v78, 0xf8, v78
	v_add_lshl_u32 v128, v78, v79, 4
	s_waitcnt vmcnt(1) lgkmcnt(1)
	v_mul_f64 v[4:5], v[2:3], v[12:13]
	v_mul_f64 v[6:7], v[0:1], v[12:13]
	v_fma_f64 v[4:5], v[0:1], v[10:11], -v[4:5]
	v_fmac_f64_e32 v[6:7], v[2:3], v[10:11]
	ds_read_b128 v[0:3], v148 offset:16128
	ds_read_b128 v[20:23], v148 offset:17136
	v_accvgpr_write_b32 a165, v13
	v_accvgpr_write_b32 a164, v12
	;; [unrolled: 1-line block ×3, first 2 shown]
	s_waitcnt vmcnt(0) lgkmcnt(1)
	v_mul_f64 v[8:9], v[2:3], v[26:27]
	v_accvgpr_write_b32 a162, v10
	v_fma_f64 v[10:11], v[0:1], v[24:25], -v[8:9]
	v_mul_f64 v[14:15], v[0:1], v[26:27]
	v_mul_lo_u16_sdwa v0, v85, s6 dst_sel:DWORD dst_unused:UNUSED_PAD src0_sel:BYTE_0 src1_sel:DWORD
	v_lshrrev_b16_e32 v77, 12, v0
	v_mul_lo_u16_e32 v0, 24, v77
	v_sub_u16_e32 v0, v85, v0
	v_and_b32_e32 v87, 0xff, v0
	v_accvgpr_write_b32 a173, v27
	v_fmac_f64_e32 v[14:15], v[2:3], v[24:25]
	v_lshlrev_b32_e32 v2, 5, v87
	v_accvgpr_write_b32 a172, v26
	v_accvgpr_write_b32 a171, v25
	;; [unrolled: 1-line block ×3, first 2 shown]
	global_load_dwordx4 v[24:27], v2, s[14:15] offset:352
	v_add_f64 v[78:79], v[6:7], -v[14:15]
	s_waitcnt vmcnt(0)
	v_mul_f64 v[0:1], v[18:19], v[26:27]
	v_mul_f64 v[12:13], v[16:17], v[26:27]
	v_accvgpr_write_b32 a185, v27
	v_fma_f64 v[8:9], v[16:17], v[24:25], -v[0:1]
	v_accvgpr_write_b32 a184, v26
	v_accvgpr_write_b32 a183, v25
	;; [unrolled: 1-line block ×3, first 2 shown]
	v_fmac_f64_e32 v[12:13], v[18:19], v[24:25]
	global_load_dwordx4 v[24:27], v2, s[14:15] offset:368
	s_waitcnt vmcnt(0) lgkmcnt(0)
	v_mul_f64 v[0:1], v[22:23], v[26:27]
	v_fma_f64 v[16:17], v[20:21], v[24:25], -v[0:1]
	v_mul_lo_u16_sdwa v0, v83, s6 dst_sel:DWORD dst_unused:UNUSED_PAD src0_sel:BYTE_0 src1_sel:DWORD
	v_lshrrev_b16_e32 v88, 12, v0
	v_mul_lo_u16_e32 v0, 24, v88
	v_sub_u16_e32 v0, v83, v0
	v_mul_f64 v[28:29], v[20:21], v[26:27]
	v_accvgpr_write_b32 a201, v27
	v_and_b32_e32 v89, 0xff, v0
	v_accvgpr_write_b32 a200, v26
	v_accvgpr_write_b32 a199, v25
	;; [unrolled: 1-line block ×3, first 2 shown]
	v_fmac_f64_e32 v[28:29], v[22:23], v[24:25]
	v_lshlrev_b32_e32 v24, 5, v89
	global_load_dwordx4 v[32:35], v24, s[14:15] offset:352
	ds_read_b128 v[0:3], v148 offset:10080
	ds_read_b128 v[20:23], v148 offset:11088
	global_load_dwordx4 v[40:43], v24, s[14:15] offset:368
	s_waitcnt vmcnt(1) lgkmcnt(1)
	v_mul_f64 v[18:19], v[2:3], v[34:35]
	v_mul_f64 v[30:31], v[0:1], v[34:35]
	v_fma_f64 v[18:19], v[0:1], v[32:33], -v[18:19]
	v_fmac_f64_e32 v[30:31], v[2:3], v[32:33]
	ds_read_b128 v[0:3], v148 offset:18144
	ds_read_b128 v[24:27], v148 offset:19152
	v_accvgpr_write_b32 a205, v35
	v_accvgpr_write_b32 a204, v34
	;; [unrolled: 1-line block ×4, first 2 shown]
	s_waitcnt vmcnt(0) lgkmcnt(1)
	v_mul_f64 v[32:33], v[2:3], v[42:43]
	v_fma_f64 v[34:35], v[0:1], v[40:41], -v[32:33]
	v_mul_f64 v[38:39], v[0:1], v[42:43]
	v_mul_lo_u16_sdwa v0, v150, s6 dst_sel:DWORD dst_unused:UNUSED_PAD src0_sel:BYTE_0 src1_sel:DWORD
	v_lshrrev_b16_e32 v90, 12, v0
	v_mul_lo_u16_e32 v0, 24, v90
	v_sub_u16_e32 v0, v150, v0
	v_and_b32_e32 v91, 0xff, v0
	v_accvgpr_write_b32 a227, v43
	v_fmac_f64_e32 v[38:39], v[2:3], v[40:41]
	v_lshlrev_b32_e32 v2, 5, v91
	v_accvgpr_write_b32 a226, v42
	v_accvgpr_write_b32 a225, v41
	;; [unrolled: 1-line block ×3, first 2 shown]
	global_load_dwordx4 v[40:43], v2, s[14:15] offset:352
	s_mov_b32 s6, 0xaaab
	s_waitcnt vmcnt(0)
	v_mul_f64 v[0:1], v[22:23], v[42:43]
	v_mul_f64 v[36:37], v[20:21], v[42:43]
	v_fma_f64 v[32:33], v[20:21], v[40:41], -v[0:1]
	v_fmac_f64_e32 v[36:37], v[22:23], v[40:41]
	global_load_dwordx4 v[20:23], v2, s[14:15] offset:368
	v_accvgpr_write_b32 a235, v43
	v_accvgpr_write_b32 a234, v42
	;; [unrolled: 1-line block ×4, first 2 shown]
	s_waitcnt vmcnt(0) lgkmcnt(0)
	v_mul_f64 v[0:1], v[26:27], v[22:23]
	v_fma_f64 v[40:41], v[24:25], v[20:21], -v[0:1]
	v_mul_u32_u24_sdwa v0, v81, s6 dst_sel:DWORD dst_unused:UNUSED_PAD src0_sel:WORD_0 src1_sel:DWORD
	v_lshrrev_b32_e32 v92, 20, v0
	v_mul_lo_u16_e32 v0, 24, v92
	v_sub_u16_e32 v93, v81, v0
	v_lshlrev_b16_e32 v0, 5, v93
	v_mul_f64 v[42:43], v[24:25], v[22:23]
	v_add_co_u32_e32 v24, vcc, s14, v0
	v_addc_co_u32_e32 v25, vcc, 0, v76, vcc
	global_load_dwordx4 v[48:51], v[24:25], off offset:352
	v_accvgpr_write_b32 a247, v23
	v_accvgpr_write_b32 a246, v22
	v_accvgpr_write_b32 a245, v21
	v_accvgpr_write_b32 a244, v20
	v_fmac_f64_e32 v[42:43], v[26:27], v[20:21]
	ds_read_b128 v[0:3], v148 offset:12096
	ds_read_b128 v[20:23], v148 offset:13104
	global_load_dwordx4 v[54:57], v[24:25], off offset:368
	s_waitcnt vmcnt(1) lgkmcnt(1)
	v_mul_f64 v[26:27], v[2:3], v[50:51]
	v_mul_f64 v[46:47], v[0:1], v[50:51]
	v_fma_f64 v[44:45], v[0:1], v[48:49], -v[26:27]
	v_fmac_f64_e32 v[46:47], v[2:3], v[48:49]
	ds_read_b128 v[0:3], v148 offset:20160
	ds_read_b128 v[24:27], v148 offset:21168
	v_accvgpr_write_b32 a255, v51
	v_accvgpr_write_b32 a254, v50
	;; [unrolled: 1-line block ×4, first 2 shown]
	s_waitcnt vmcnt(0) lgkmcnt(1)
	v_mul_f64 v[48:49], v[2:3], v[56:57]
	v_fma_f64 v[48:49], v[0:1], v[54:55], -v[48:49]
	v_mul_f64 v[52:53], v[0:1], v[56:57]
	v_mul_u32_u24_sdwa v0, v84, s6 dst_sel:DWORD dst_unused:UNUSED_PAD src0_sel:WORD_0 src1_sel:DWORD
	v_lshrrev_b32_e32 v94, 20, v0
	v_mul_lo_u16_e32 v0, 24, v94
	v_sub_u16_e32 v95, v84, v0
	v_lshlrev_b16_e32 v0, 5, v95
	v_add_co_u32_e32 v0, vcc, s14, v0
	v_accvgpr_write_b32 a123, v57
	v_addc_co_u32_e32 v1, vcc, 0, v76, vcc
	v_accvgpr_write_b32 a122, v56
	v_accvgpr_write_b32 a121, v55
	;; [unrolled: 1-line block ×3, first 2 shown]
	global_load_dwordx4 v[56:59], v[0:1], off offset:352
	v_fmac_f64_e32 v[52:53], v[2:3], v[54:55]
	s_waitcnt vmcnt(0)
	v_mul_f64 v[2:3], v[22:23], v[58:59]
	v_mul_f64 v[54:55], v[20:21], v[58:59]
	v_fma_f64 v[50:51], v[20:21], v[56:57], -v[2:3]
	v_fmac_f64_e32 v[54:55], v[22:23], v[56:57]
	global_load_dwordx4 v[20:23], v[0:1], off offset:368
	v_accvgpr_write_b32 a251, v59
	v_accvgpr_write_b32 a250, v58
	;; [unrolled: 1-line block ×4, first 2 shown]
	s_waitcnt vmcnt(0) lgkmcnt(0)
	v_mul_f64 v[0:1], v[26:27], v[22:23]
	v_fma_f64 v[56:57], v[24:25], v[20:21], -v[0:1]
	v_mul_u32_u24_sdwa v0, v82, s6 dst_sel:DWORD dst_unused:UNUSED_PAD src0_sel:WORD_0 src1_sel:DWORD
	v_lshrrev_b32_e32 v96, 20, v0
	v_mul_lo_u16_e32 v0, 24, v96
	v_sub_u16_e32 v97, v82, v0
	v_lshlrev_b16_e32 v0, 5, v97
	v_mul_f64 v[58:59], v[24:25], v[22:23]
	v_add_co_u32_e32 v24, vcc, s14, v0
	v_addc_co_u32_e32 v25, vcc, 0, v76, vcc
	global_load_dwordx4 v[64:67], v[24:25], off offset:352
	v_accvgpr_write_b32 a51, v23
	v_accvgpr_write_b32 a50, v22
	;; [unrolled: 1-line block ×4, first 2 shown]
	v_fmac_f64_e32 v[58:59], v[26:27], v[20:21]
	ds_read_b128 v[0:3], v148 offset:14112
	ds_read_b128 v[20:23], v148 offset:15120
	global_load_dwordx4 v[70:73], v[24:25], off offset:368
	s_waitcnt vmcnt(1) lgkmcnt(1)
	v_mul_f64 v[26:27], v[2:3], v[66:67]
	v_mul_f64 v[62:63], v[0:1], v[66:67]
	v_fma_f64 v[60:61], v[0:1], v[64:65], -v[26:27]
	v_fmac_f64_e32 v[62:63], v[2:3], v[64:65]
	ds_read_b128 v[0:3], v148 offset:22176
	ds_read_b128 v[24:27], v148 offset:23184
	v_accvgpr_write_b32 a22, v64
	v_accvgpr_write_b32 a23, v65
	;; [unrolled: 1-line block ×4, first 2 shown]
	s_waitcnt vmcnt(0) lgkmcnt(1)
	v_mul_f64 v[64:65], v[2:3], v[72:73]
	v_fma_f64 v[64:65], v[0:1], v[70:71], -v[64:65]
	v_mul_f64 v[68:69], v[0:1], v[72:73]
	v_mul_u32_u24_sdwa v0, v80, s6 dst_sel:DWORD dst_unused:UNUSED_PAD src0_sel:WORD_0 src1_sel:DWORD
	v_lshrrev_b32_e32 v98, 20, v0
	v_mul_lo_u16_e32 v0, 24, v98
	v_sub_u16_e32 v99, v80, v0
	v_lshlrev_b16_e32 v0, 5, v99
	v_add_co_u32_e32 v0, vcc, s14, v0
	v_accvgpr_write_b32 a44, v70
	v_addc_co_u32_e32 v1, vcc, 0, v76, vcc
	v_accvgpr_write_b32 a45, v71
	v_accvgpr_write_b32 a46, v72
	;; [unrolled: 1-line block ×3, first 2 shown]
	global_load_dwordx4 v[72:75], v[0:1], off offset:352
	v_fmac_f64_e32 v[68:69], v[2:3], v[70:71]
	s_movk_i32 s6, 0x48
	s_waitcnt vmcnt(0)
	v_mul_f64 v[2:3], v[22:23], v[74:75]
	v_mul_f64 v[70:71], v[20:21], v[74:75]
	v_fma_f64 v[66:67], v[20:21], v[72:73], -v[2:3]
	v_fmac_f64_e32 v[70:71], v[22:23], v[72:73]
	global_load_dwordx4 v[20:23], v[0:1], off offset:368
	v_accvgpr_write_b32 a52, v72
	v_accvgpr_write_b32 a53, v73
	;; [unrolled: 1-line block ×4, first 2 shown]
	s_waitcnt vmcnt(0) lgkmcnt(0)
	v_mul_f64 v[0:1], v[26:27], v[22:23]
	v_mul_f64 v[74:75], v[24:25], v[22:23]
	v_accvgpr_write_b32 a67, v23
	v_fma_f64 v[72:73], v[24:25], v[20:21], -v[0:1]
	v_accvgpr_write_b32 a66, v22
	v_accvgpr_write_b32 a65, v21
	;; [unrolled: 1-line block ×3, first 2 shown]
	v_fmac_f64_e32 v[74:75], v[26:27], v[20:21]
	ds_read_b128 v[24:27], v148
	ds_read_b128 v[20:23], v148 offset:1008
	ds_read_b128 v[100:103], v148 offset:2016
	;; [unrolled: 1-line block ×7, first 2 shown]
	s_waitcnt lgkmcnt(0)
	; wave barrier
	s_waitcnt lgkmcnt(0)
	v_add_f64 v[0:1], v[24:25], v[4:5]
	v_add_f64 v[2:3], v[26:27], v[6:7]
	;; [unrolled: 1-line block ×4, first 2 shown]
	ds_write_b128 v128, v[0:3]
	v_add_f64 v[0:1], v[4:5], v[10:11]
	v_fmac_f64_e32 v[24:25], -0.5, v[0:1]
	v_add_f64 v[0:1], v[6:7], v[14:15]
	v_fmac_f64_e32 v[26:27], -0.5, v[0:1]
	v_add_f64 v[4:5], v[4:5], -v[10:11]
	v_fma_f64 v[0:1], s[0:1], v[78:79], v[24:25]
	v_fma_f64 v[2:3], s[2:3], v[4:5], v[26:27]
	ds_write_b128 v128, v[0:3] offset:384
	v_fmac_f64_e32 v[26:27], s[0:1], v[4:5]
	v_add_f64 v[0:1], v[20:21], v[8:9]
	v_add_f64 v[2:3], v[22:23], v[12:13]
	v_mul_u32_u24_e32 v4, 0x48, v77
	v_fmac_f64_e32 v[24:25], s[2:3], v[78:79]
	v_add_f64 v[0:1], v[0:1], v[16:17]
	v_add_f64 v[2:3], v[2:3], v[28:29]
	v_add_lshl_u32 v10, v4, v87, 4
	ds_write_b128 v128, v[24:27] offset:768
	ds_write_b128 v10, v[0:3]
	v_add_f64 v[0:1], v[8:9], v[16:17]
	v_fmac_f64_e32 v[20:21], -0.5, v[0:1]
	v_add_f64 v[0:1], v[12:13], v[28:29]
	v_add_f64 v[4:5], v[12:13], -v[28:29]
	v_fmac_f64_e32 v[22:23], -0.5, v[0:1]
	v_add_f64 v[6:7], v[8:9], -v[16:17]
	v_fma_f64 v[0:1], s[0:1], v[4:5], v[20:21]
	v_fma_f64 v[2:3], s[2:3], v[6:7], v[22:23]
	ds_write_b128 v10, v[0:3] offset:384
	v_fmac_f64_e32 v[20:21], s[2:3], v[4:5]
	v_add_f64 v[0:1], v[100:101], v[18:19]
	v_add_f64 v[2:3], v[102:103], v[30:31]
	v_mul_u32_u24_e32 v4, 0x48, v88
	v_fmac_f64_e32 v[22:23], s[0:1], v[6:7]
	v_add_f64 v[0:1], v[0:1], v[34:35]
	v_add_f64 v[2:3], v[2:3], v[38:39]
	v_add_lshl_u32 v8, v4, v89, 4
	ds_write_b128 v10, v[20:23] offset:768
	ds_write_b128 v8, v[0:3]
	v_add_f64 v[0:1], v[18:19], v[34:35]
	v_fmac_f64_e32 v[100:101], -0.5, v[0:1]
	v_add_f64 v[0:1], v[30:31], v[38:39]
	v_add_f64 v[4:5], v[30:31], -v[38:39]
	v_fmac_f64_e32 v[102:103], -0.5, v[0:1]
	v_add_f64 v[6:7], v[18:19], -v[34:35]
	v_fma_f64 v[0:1], s[0:1], v[4:5], v[100:101]
	v_fma_f64 v[2:3], s[2:3], v[6:7], v[102:103]
	ds_write_b128 v8, v[0:3] offset:384
	v_fmac_f64_e32 v[100:101], s[2:3], v[4:5]
	v_fmac_f64_e32 v[102:103], s[0:1], v[6:7]
	v_add_f64 v[0:1], v[104:105], v[32:33]
	v_add_f64 v[2:3], v[106:107], v[36:37]
	v_mul_u32_u24_e32 v4, 0x48, v90
	buffer_store_dword v8, off, s[36:39], 0 offset:292 ; 4-byte Folded Spill
	ds_write_b128 v8, v[100:103] offset:768
	v_add_f64 v[0:1], v[0:1], v[40:41]
	v_add_f64 v[2:3], v[2:3], v[42:43]
	v_add_lshl_u32 v8, v4, v91, 4
	ds_write_b128 v8, v[0:3]
	v_add_f64 v[0:1], v[32:33], v[40:41]
	v_fmac_f64_e32 v[104:105], -0.5, v[0:1]
	v_add_f64 v[0:1], v[36:37], v[42:43]
	v_add_f64 v[4:5], v[36:37], -v[42:43]
	v_fmac_f64_e32 v[106:107], -0.5, v[0:1]
	v_add_f64 v[6:7], v[32:33], -v[40:41]
	v_fma_f64 v[0:1], s[0:1], v[4:5], v[104:105]
	v_fma_f64 v[2:3], s[2:3], v[6:7], v[106:107]
	ds_write_b128 v8, v[0:3] offset:384
	v_fmac_f64_e32 v[104:105], s[2:3], v[4:5]
	v_fmac_f64_e32 v[106:107], s[0:1], v[6:7]
	v_add_f64 v[0:1], v[108:109], v[44:45]
	v_add_f64 v[2:3], v[110:111], v[46:47]
	v_mad_legacy_u16 v4, v92, s6, v93
	buffer_store_dword v8, off, s[36:39], 0 offset:304 ; 4-byte Folded Spill
	ds_write_b128 v8, v[104:107] offset:768
	v_add_f64 v[0:1], v[0:1], v[48:49]
	v_add_f64 v[2:3], v[2:3], v[52:53]
	v_lshlrev_b32_e32 v8, 4, v4
	ds_write_b128 v8, v[0:3]
	v_add_f64 v[0:1], v[44:45], v[48:49]
	v_fmac_f64_e32 v[108:109], -0.5, v[0:1]
	v_add_f64 v[0:1], v[46:47], v[52:53]
	v_add_f64 v[4:5], v[46:47], -v[52:53]
	v_fmac_f64_e32 v[110:111], -0.5, v[0:1]
	v_add_f64 v[6:7], v[44:45], -v[48:49]
	v_fma_f64 v[0:1], s[0:1], v[4:5], v[108:109]
	v_fma_f64 v[2:3], s[2:3], v[6:7], v[110:111]
	ds_write_b128 v8, v[0:3] offset:384
	v_fmac_f64_e32 v[108:109], s[2:3], v[4:5]
	v_fmac_f64_e32 v[110:111], s[0:1], v[6:7]
	v_add_f64 v[0:1], v[112:113], v[50:51]
	v_add_f64 v[2:3], v[114:115], v[54:55]
	v_mad_legacy_u16 v4, v94, s6, v95
	buffer_store_dword v8, off, s[36:39], 0 offset:548 ; 4-byte Folded Spill
	ds_write_b128 v8, v[108:111] offset:768
	v_add_f64 v[0:1], v[0:1], v[56:57]
	v_add_f64 v[2:3], v[2:3], v[58:59]
	v_lshlrev_b32_e32 v8, 4, v4
	;; [unrolled: 20-line block ×4, first 2 shown]
	ds_write_b128 v8, v[0:3]
	v_add_f64 v[0:1], v[66:67], v[72:73]
	v_fmac_f64_e32 v[124:125], -0.5, v[0:1]
	v_add_f64 v[0:1], v[70:71], v[74:75]
	v_add_f64 v[4:5], v[70:71], -v[74:75]
	v_fmac_f64_e32 v[126:127], -0.5, v[0:1]
	v_add_f64 v[6:7], v[66:67], -v[72:73]
	v_fma_f64 v[0:1], s[0:1], v[4:5], v[124:125]
	v_fma_f64 v[2:3], s[2:3], v[6:7], v[126:127]
	v_fmac_f64_e32 v[124:125], s[2:3], v[4:5]
	v_fmac_f64_e32 v[126:127], s[0:1], v[6:7]
	buffer_store_dword v128, off, s[36:39], 0 offset:272 ; 4-byte Folded Spill
	buffer_store_dword v10, off, s[36:39], 0 offset:276 ; 4-byte Folded Spill
	ds_write_b128 v8, v[0:3] offset:384
	buffer_store_dword v8, off, s[36:39], 0 offset:584 ; 4-byte Folded Spill
	ds_write_b128 v8, v[124:127] offset:768
	s_waitcnt lgkmcnt(0)
	; wave barrier
	s_waitcnt lgkmcnt(0)
	global_load_dwordx4 v[10:13], v149, s[14:15] offset:1120
	ds_read_b128 v[0:3], v148 offset:8064
	ds_read_b128 v[16:19], v148 offset:9072
	global_load_dwordx4 v[26:29], v149, s[14:15] offset:1136
	v_mov_b32_e32 v30, 57
	s_waitcnt vmcnt(1) lgkmcnt(1)
	v_mul_f64 v[4:5], v[2:3], v[12:13]
	v_mul_f64 v[8:9], v[0:1], v[12:13]
	v_fma_f64 v[6:7], v[0:1], v[10:11], -v[4:5]
	v_fmac_f64_e32 v[8:9], v[2:3], v[10:11]
	ds_read_b128 v[0:3], v148 offset:16128
	ds_read_b128 v[22:25], v148 offset:17136
	v_accvgpr_write_b32 a79, v13
	v_accvgpr_write_b32 a78, v12
	;; [unrolled: 1-line block ×3, first 2 shown]
	s_waitcnt vmcnt(0) lgkmcnt(1)
	v_mul_f64 v[4:5], v[2:3], v[28:29]
	v_accvgpr_write_b32 a76, v10
	v_fma_f64 v[10:11], v[0:1], v[26:27], -v[4:5]
	v_mul_f64 v[12:13], v[0:1], v[28:29]
	v_add_co_u32_e32 v0, vcc, -9, v152
	v_addc_co_u32_e64 v1, s[6:7], 0, -1, vcc
	v_cmp_gt_u16_e32 vcc, 9, v152
	v_cndmask_b32_e32 v5, v1, v86, vcc
	v_cndmask_b32_e32 v4, v0, v85, vcc
	v_lshlrev_b64 v[0:1], 5, v[4:5]
	v_add_co_u32_e32 v0, vcc, s14, v0
	v_accvgpr_write_b32 a83, v29
	v_addc_co_u32_e32 v1, vcc, v76, v1, vcc
	v_accvgpr_write_b32 a82, v28
	v_accvgpr_write_b32 a81, v27
	;; [unrolled: 1-line block ×3, first 2 shown]
	v_fmac_f64_e32 v[12:13], v[2:3], v[26:27]
	global_load_dwordx4 v[26:29], v[0:1], off offset:1120
	s_mov_b32 s6, 0xe38f
	s_waitcnt vmcnt(0)
	v_mul_f64 v[2:3], v[18:19], v[28:29]
	v_fma_f64 v[14:15], v[16:17], v[26:27], -v[2:3]
	v_mul_f64 v[16:17], v[16:17], v[28:29]
	v_accvgpr_write_b32 a87, v29
	v_accvgpr_write_b32 a86, v28
	;; [unrolled: 1-line block ×4, first 2 shown]
	v_fmac_f64_e32 v[16:17], v[18:19], v[26:27]
	global_load_dwordx4 v[26:29], v[0:1], off offset:1136
	s_waitcnt vmcnt(0) lgkmcnt(0)
	v_mul_f64 v[0:1], v[24:25], v[28:29]
	v_fma_f64 v[18:19], v[22:23], v[26:27], -v[0:1]
	v_mul_lo_u16_sdwa v0, v83, v30 dst_sel:DWORD dst_unused:UNUSED_PAD src0_sel:BYTE_0 src1_sel:DWORD
	v_lshrrev_b16_e32 v5, 12, v0
	v_mul_lo_u16_e32 v0, 0x48, v5
	v_sub_u16_e32 v0, v83, v0
	v_mul_f64 v[22:23], v[22:23], v[28:29]
	v_accvgpr_write_b32 a6, v26
	v_and_b32_e32 v52, 0xff, v0
	v_accvgpr_write_b32 a7, v27
	v_accvgpr_write_b32 a8, v28
	;; [unrolled: 1-line block ×3, first 2 shown]
	v_fmac_f64_e32 v[22:23], v[24:25], v[26:27]
	v_lshlrev_b32_e32 v26, 5, v52
	global_load_dwordx4 v[38:41], v26, s[14:15] offset:1120
	ds_read_b128 v[0:3], v148 offset:10080
	ds_read_b128 v[34:37], v148 offset:11088
	global_load_dwordx4 v[42:45], v26, s[14:15] offset:1136
	s_waitcnt vmcnt(1) lgkmcnt(1)
	v_mul_f64 v[20:21], v[2:3], v[40:41]
	v_mul_f64 v[24:25], v[0:1], v[40:41]
	v_accvgpr_write_b32 a91, v41
	v_fma_f64 v[20:21], v[0:1], v[38:39], -v[20:21]
	v_accvgpr_write_b32 a90, v40
	v_accvgpr_write_b32 a89, v39
	;; [unrolled: 1-line block ×3, first 2 shown]
	v_fmac_f64_e32 v[24:25], v[2:3], v[38:39]
	ds_read_b128 v[0:3], v148 offset:18144
	ds_read_b128 v[38:41], v148 offset:19152
	s_waitcnt vmcnt(0)
	v_accvgpr_write_b32 a36, v42
	v_accvgpr_write_b32 a37, v43
	;; [unrolled: 1-line block ×3, first 2 shown]
	s_waitcnt lgkmcnt(1)
	v_mul_f64 v[26:27], v[2:3], v[44:45]
	v_fma_f64 v[28:29], v[0:1], v[42:43], -v[26:27]
	v_mul_f64 v[32:33], v[0:1], v[44:45]
	v_mul_lo_u16_sdwa v0, v150, v30 dst_sel:DWORD dst_unused:UNUSED_PAD src0_sel:BYTE_0 src1_sel:DWORD
	v_lshrrev_b16_e32 v53, 12, v0
	v_mul_lo_u16_e32 v0, 0x48, v53
	v_sub_u16_e32 v0, v150, v0
	v_and_b32_e32 v54, 0xff, v0
	v_fmac_f64_e32 v[32:33], v[2:3], v[42:43]
	v_lshlrev_b32_e32 v2, 5, v54
	v_accvgpr_write_b32 a39, v45
	global_load_dwordx4 v[42:45], v2, s[14:15] offset:1120
	s_waitcnt vmcnt(0)
	v_mul_f64 v[0:1], v[36:37], v[44:45]
	v_mul_f64 v[30:31], v[34:35], v[44:45]
	v_accvgpr_write_b32 a99, v45
	v_fma_f64 v[26:27], v[34:35], v[42:43], -v[0:1]
	v_accvgpr_write_b32 a98, v44
	v_accvgpr_write_b32 a97, v43
	;; [unrolled: 1-line block ×3, first 2 shown]
	v_fmac_f64_e32 v[30:31], v[36:37], v[42:43]
	global_load_dwordx4 v[42:45], v2, s[14:15] offset:1136
	s_waitcnt vmcnt(0) lgkmcnt(0)
	v_mul_f64 v[0:1], v[40:41], v[44:45]
	v_fma_f64 v[34:35], v[38:39], v[42:43], -v[0:1]
	v_mul_u32_u24_sdwa v0, v81, s6 dst_sel:DWORD dst_unused:UNUSED_PAD src0_sel:WORD_0 src1_sel:DWORD
	v_lshrrev_b32_e32 v55, 22, v0
	v_mul_lo_u16_e32 v0, 0x48, v55
	v_sub_u16_e32 v56, v81, v0
	v_mul_f64 v[36:37], v[38:39], v[44:45]
	v_accvgpr_write_b32 a95, v45
	v_lshlrev_b16_e32 v0, 5, v56
	v_accvgpr_write_b32 a94, v44
	v_accvgpr_write_b32 a93, v43
	;; [unrolled: 1-line block ×3, first 2 shown]
	v_fmac_f64_e32 v[36:37], v[40:41], v[42:43]
	v_add_co_u32_e32 v42, vcc, s14, v0
	v_addc_co_u32_e32 v43, vcc, 0, v76, vcc
	global_load_dwordx4 v[44:47], v[42:43], off offset:1120
	ds_read_b128 v[0:3], v148 offset:12096
	ds_read_b128 v[48:51], v148 offset:13104
	global_load_dwordx4 v[58:61], v[42:43], off offset:1136
	s_waitcnt vmcnt(1) lgkmcnt(1)
	v_mul_f64 v[38:39], v[2:3], v[46:47]
	v_mul_f64 v[40:41], v[0:1], v[46:47]
	v_fma_f64 v[38:39], v[0:1], v[44:45], -v[38:39]
	v_fmac_f64_e32 v[40:41], v[2:3], v[44:45]
	ds_read_b128 v[0:3], v148 offset:20160
	ds_read_b128 v[68:71], v148 offset:21168
	v_accvgpr_write_b32 a26, v44
	v_accvgpr_write_b32 a27, v45
	;; [unrolled: 1-line block ×3, first 2 shown]
	s_waitcnt vmcnt(0) lgkmcnt(1)
	v_mul_f64 v[42:43], v[2:3], v[60:61]
	v_accvgpr_write_b32 a29, v47
	v_fma_f64 v[42:43], v[0:1], v[58:59], -v[42:43]
	v_mul_f64 v[46:47], v[0:1], v[60:61]
	v_mul_u32_u24_sdwa v0, v84, s6 dst_sel:DWORD dst_unused:UNUSED_PAD src0_sel:WORD_0 src1_sel:DWORD
	v_lshrrev_b32_e32 v57, 22, v0
	v_accvgpr_write_b32 a10, v58
	v_mul_lo_u16_e32 v0, 0x48, v57
	v_accvgpr_write_b32 a11, v59
	v_accvgpr_write_b32 a12, v60
	;; [unrolled: 1-line block ×3, first 2 shown]
	v_fmac_f64_e32 v[46:47], v[2:3], v[58:59]
	v_sub_u16_e32 v58, v84, v0
	v_lshlrev_b16_e32 v0, 5, v58
	v_add_co_u32_e32 v0, vcc, s14, v0
	v_addc_co_u32_e32 v1, vcc, 0, v76, vcc
	global_load_dwordx4 v[60:63], v[0:1], off offset:1120
	global_load_dwordx4 v[64:67], v[0:1], off offset:1136
	s_waitcnt vmcnt(1)
	v_mul_f64 v[2:3], v[50:51], v[62:63]
	v_fma_f64 v[44:45], v[48:49], v[60:61], -v[2:3]
	v_mul_f64 v[48:49], v[48:49], v[62:63]
	s_waitcnt vmcnt(0) lgkmcnt(0)
	v_mul_f64 v[0:1], v[70:71], v[66:67]
	v_fmac_f64_e32 v[48:49], v[50:51], v[60:61]
	v_fma_f64 v[50:51], v[68:69], v[64:65], -v[0:1]
	v_mul_u32_u24_sdwa v0, v82, s6 dst_sel:DWORD dst_unused:UNUSED_PAD src0_sel:WORD_0 src1_sel:DWORD
	v_lshrrev_b32_e32 v59, 22, v0
	v_mul_lo_u16_e32 v0, 0x48, v59
	v_sub_u16_e32 v130, v82, v0
	v_lshlrev_b16_e32 v0, 5, v130
	v_add_co_u32_e32 v72, vcc, s14, v0
	v_mul_f64 v[108:109], v[68:69], v[66:67]
	v_addc_co_u32_e32 v73, vcc, 0, v76, vcc
	v_fmac_f64_e32 v[108:109], v[70:71], v[64:65]
	global_load_dwordx4 v[68:71], v[72:73], off offset:1120
	ds_read_b128 v[0:3], v148 offset:14112
	ds_read_b128 v[82:85], v148 offset:15120
	s_waitcnt vmcnt(0) lgkmcnt(1)
	v_mul_f64 v[74:75], v[2:3], v[70:71]
	v_fma_f64 v[110:111], v[0:1], v[68:69], -v[74:75]
	global_load_dwordx4 v[72:75], v[72:73], off offset:1136
	v_mul_f64 v[112:113], v[0:1], v[70:71]
	v_fmac_f64_e32 v[112:113], v[2:3], v[68:69]
	ds_read_b128 v[0:3], v148 offset:22176
	ds_read_b128 v[86:89], v148 offset:23184
	s_waitcnt vmcnt(0) lgkmcnt(1)
	v_mul_f64 v[78:79], v[2:3], v[74:75]
	v_fma_f64 v[114:115], v[0:1], v[72:73], -v[78:79]
	v_mul_f64 v[120:121], v[0:1], v[74:75]
	v_mul_u32_u24_sdwa v0, v80, s6 dst_sel:DWORD dst_unused:UNUSED_PAD src0_sel:WORD_0 src1_sel:DWORD
	v_lshrrev_b32_e32 v0, 22, v0
	v_mul_lo_u16_e32 v0, 0x48, v0
	v_sub_u16_e32 v131, v80, v0
	v_lshlrev_b16_e32 v0, 5, v131
	v_add_co_u32_e32 v0, vcc, s14, v0
	v_addc_co_u32_e32 v1, vcc, 0, v76, vcc
	global_load_dwordx4 v[76:79], v[0:1], off offset:1120
	global_load_dwordx4 v[92:95], v[0:1], off offset:1136
	v_fmac_f64_e32 v[120:121], v[2:3], v[72:73]
	v_cmp_lt_u16_e32 vcc, 8, v152
	s_movk_i32 s6, 0xd8
	v_lshlrev_b32_e32 v151, 4, v131
	s_waitcnt vmcnt(1)
	v_mul_f64 v[2:3], v[84:85], v[78:79]
	s_waitcnt vmcnt(0) lgkmcnt(0)
	v_mul_f64 v[0:1], v[88:89], v[94:95]
	v_fma_f64 v[122:123], v[82:83], v[76:77], -v[2:3]
	v_fma_f64 v[126:127], v[86:87], v[92:93], -v[0:1]
	ds_read_b128 v[0:3], v148
	ds_read_b128 v[104:107], v148 offset:1008
	v_mul_f64 v[124:125], v[82:83], v[78:79]
	v_mul_f64 v[128:129], v[86:87], v[94:95]
	v_fmac_f64_e32 v[124:125], v[84:85], v[76:77]
	s_waitcnt lgkmcnt(1)
	v_add_f64 v[80:81], v[0:1], v[6:7]
	v_add_f64 v[132:133], v[80:81], v[10:11]
	;; [unrolled: 1-line block ×4, first 2 shown]
	v_fmac_f64_e32 v[128:129], v[88:89], v[92:93]
	ds_read_b128 v[100:103], v148 offset:2016
	ds_read_b128 v[96:99], v148 offset:3024
	;; [unrolled: 1-line block ×6, first 2 shown]
	s_waitcnt lgkmcnt(0)
	; wave barrier
	s_waitcnt lgkmcnt(0)
	ds_write_b128 v148, v[132:135]
	v_add_f64 v[132:133], v[6:7], v[10:11]
	v_fmac_f64_e32 v[0:1], -0.5, v[132:133]
	v_add_f64 v[132:133], v[8:9], -v[12:13]
	v_add_f64 v[8:9], v[8:9], v[12:13]
	v_fmac_f64_e32 v[2:3], -0.5, v[8:9]
	v_add_f64 v[10:11], v[6:7], -v[10:11]
	v_fma_f64 v[6:7], s[0:1], v[132:133], v[0:1]
	v_fma_f64 v[8:9], s[2:3], v[10:11], v[2:3]
	ds_write_b128 v148, v[6:9] offset:1152
	v_fmac_f64_e32 v[0:1], s[2:3], v[132:133]
	v_fmac_f64_e32 v[2:3], s[0:1], v[10:11]
	v_mov_b32_e32 v6, 0xd8
	ds_write_b128 v148, v[0:3] offset:2304
	v_add_f64 v[0:1], v[104:105], v[14:15]
	v_add_f64 v[2:3], v[106:107], v[16:17]
	v_cndmask_b32_e32 v6, 0, v6, vcc
	v_add_f64 v[0:1], v[0:1], v[18:19]
	v_add_f64 v[2:3], v[2:3], v[22:23]
	v_add_lshl_u32 v4, v4, v6, 4
	ds_write_b128 v4, v[0:3]
	v_add_f64 v[0:1], v[14:15], v[18:19]
	v_fmac_f64_e32 v[104:105], -0.5, v[0:1]
	v_add_f64 v[0:1], v[16:17], v[22:23]
	v_add_f64 v[6:7], v[16:17], -v[22:23]
	v_fmac_f64_e32 v[106:107], -0.5, v[0:1]
	v_add_f64 v[8:9], v[14:15], -v[18:19]
	v_fma_f64 v[0:1], s[0:1], v[6:7], v[104:105]
	v_fma_f64 v[2:3], s[2:3], v[8:9], v[106:107]
	v_fmac_f64_e32 v[104:105], s[2:3], v[6:7]
	v_fmac_f64_e32 v[106:107], s[0:1], v[8:9]
	ds_write_b128 v4, v[0:3] offset:1152
	v_accvgpr_write_b32 a101, v4
	ds_write_b128 v4, v[104:107] offset:2304
	v_add_f64 v[0:1], v[100:101], v[20:21]
	v_add_f64 v[2:3], v[102:103], v[24:25]
	v_mul_u32_u24_e32 v4, 0xd8, v5
	v_add_f64 v[0:1], v[0:1], v[28:29]
	v_add_f64 v[2:3], v[2:3], v[32:33]
	v_add_lshl_u32 v8, v4, v52, 4
	ds_write_b128 v8, v[0:3]
	v_add_f64 v[0:1], v[20:21], v[28:29]
	v_fmac_f64_e32 v[100:101], -0.5, v[0:1]
	v_add_f64 v[0:1], v[24:25], v[32:33]
	v_add_f64 v[4:5], v[24:25], -v[32:33]
	v_fmac_f64_e32 v[102:103], -0.5, v[0:1]
	v_add_f64 v[6:7], v[20:21], -v[28:29]
	v_fma_f64 v[0:1], s[0:1], v[4:5], v[100:101]
	v_fma_f64 v[2:3], s[2:3], v[6:7], v[102:103]
	ds_write_b128 v8, v[0:3] offset:1152
	v_fmac_f64_e32 v[100:101], s[2:3], v[4:5]
	v_fmac_f64_e32 v[102:103], s[0:1], v[6:7]
	v_add_f64 v[0:1], v[96:97], v[26:27]
	v_add_f64 v[2:3], v[98:99], v[30:31]
	v_mul_u32_u24_e32 v4, 0xd8, v53
	v_accvgpr_write_b32 a136, v8
	ds_write_b128 v8, v[100:103] offset:2304
	v_add_f64 v[0:1], v[0:1], v[34:35]
	v_add_f64 v[2:3], v[2:3], v[36:37]
	v_add_lshl_u32 v8, v4, v54, 4
	ds_write_b128 v8, v[0:3]
	v_add_f64 v[0:1], v[26:27], v[34:35]
	v_fmac_f64_e32 v[96:97], -0.5, v[0:1]
	v_add_f64 v[0:1], v[30:31], v[36:37]
	v_add_f64 v[4:5], v[30:31], -v[36:37]
	v_fmac_f64_e32 v[98:99], -0.5, v[0:1]
	v_add_f64 v[6:7], v[26:27], -v[34:35]
	v_fma_f64 v[0:1], s[0:1], v[4:5], v[96:97]
	v_fma_f64 v[2:3], s[2:3], v[6:7], v[98:99]
	ds_write_b128 v8, v[0:3] offset:1152
	v_fmac_f64_e32 v[96:97], s[2:3], v[4:5]
	v_fmac_f64_e32 v[98:99], s[0:1], v[6:7]
	v_add_f64 v[0:1], v[88:89], v[38:39]
	v_add_f64 v[2:3], v[90:91], v[40:41]
	v_mad_legacy_u16 v4, v55, s6, v56
	v_accvgpr_write_b32 a1, v8
	ds_write_b128 v8, v[96:99] offset:2304
	v_add_f64 v[0:1], v[0:1], v[42:43]
	v_add_f64 v[2:3], v[2:3], v[46:47]
	v_lshlrev_b32_e32 v8, 4, v4
	ds_write_b128 v8, v[0:3]
	v_add_f64 v[0:1], v[38:39], v[42:43]
	v_fmac_f64_e32 v[88:89], -0.5, v[0:1]
	v_add_f64 v[0:1], v[40:41], v[46:47]
	v_add_f64 v[4:5], v[40:41], -v[46:47]
	v_fmac_f64_e32 v[90:91], -0.5, v[0:1]
	v_add_f64 v[6:7], v[38:39], -v[42:43]
	v_fma_f64 v[0:1], s[0:1], v[4:5], v[88:89]
	v_fma_f64 v[2:3], s[2:3], v[6:7], v[90:91]
	ds_write_b128 v8, v[0:3] offset:1152
	v_fmac_f64_e32 v[88:89], s[2:3], v[4:5]
	v_fmac_f64_e32 v[90:91], s[0:1], v[6:7]
	v_add_f64 v[0:1], v[84:85], v[44:45]
	v_add_f64 v[2:3], v[86:87], v[48:49]
	v_mad_legacy_u16 v4, v57, s6, v58
	v_accvgpr_write_b32 a137, v8
	ds_write_b128 v8, v[88:91] offset:2304
	v_add_f64 v[0:1], v[0:1], v[50:51]
	v_add_f64 v[2:3], v[2:3], v[108:109]
	v_lshlrev_b32_e32 v8, 4, v4
	;; [unrolled: 20-line block ×3, first 2 shown]
	ds_write_b128 v8, v[0:3]
	v_add_f64 v[0:1], v[110:111], v[114:115]
	v_fmac_f64_e32 v[80:81], -0.5, v[0:1]
	v_add_f64 v[0:1], v[112:113], v[120:121]
	v_add_f64 v[4:5], v[112:113], -v[120:121]
	v_fmac_f64_e32 v[82:83], -0.5, v[0:1]
	v_add_f64 v[6:7], v[110:111], -v[114:115]
	v_fma_f64 v[0:1], s[0:1], v[4:5], v[80:81]
	v_fma_f64 v[2:3], s[2:3], v[6:7], v[82:83]
	ds_write_b128 v8, v[0:3] offset:1152
	v_add_f64 v[0:1], v[168:169], v[122:123]
	v_add_f64 v[160:161], v[0:1], v[126:127]
	;; [unrolled: 1-line block ×6, first 2 shown]
	v_fmac_f64_e32 v[80:81], s[2:3], v[4:5]
	v_fmac_f64_e32 v[82:83], s[0:1], v[6:7]
	v_fmac_f64_e32 v[168:169], -0.5, v[2:3]
	v_add_f64 v[2:3], v[124:125], -v[128:129]
	v_fmac_f64_e32 v[170:171], -0.5, v[0:1]
	v_add_f64 v[0:1], v[122:123], -v[126:127]
	ds_write_b128 v8, v[80:83] offset:2304
	v_fma_f64 v[188:189], s[0:1], v[2:3], v[168:169]
	v_fmac_f64_e32 v[168:169], s[2:3], v[2:3]
	v_fma_f64 v[190:191], s[2:3], v[0:1], v[170:171]
	v_fmac_f64_e32 v[170:171], s[0:1], v[0:1]
	ds_write_b128 v151, v[160:163] offset:20736
	ds_write_b128 v151, v[188:191] offset:21888
	;; [unrolled: 1-line block ×3, first 2 shown]
	s_waitcnt lgkmcnt(0)
	; wave barrier
	s_waitcnt lgkmcnt(0)
	v_cmp_gt_u16_e64 s[0:1], 27, v152
	ds_read_b128 v[176:179], v148
	ds_read_b128 v[172:175], v148 offset:1008
	ds_read_b128 v[104:107], v148 offset:6912
	;; [unrolled: 1-line block ×20, first 2 shown]
	s_load_dwordx2 s[2:3], s[4:5], 0x38
	v_accvgpr_write_b32 a35, v8
	s_and_saveexec_b64 s[4:5], s[0:1]
	s_cbranch_execz .LBB0_3
; %bb.2:
	ds_read_b128 v[160:163], v148 offset:3024
	ds_read_b128 v[188:191], v148 offset:6480
	;; [unrolled: 1-line block ×7, first 2 shown]
.LBB0_3:
	s_or_b64 exec, exec, s[4:5]
	s_movk_i32 s4, 0x60
	v_pk_mov_b32 v[0:1], s[14:15], s[14:15] op_sel:[0,1]
	v_accvgpr_read_b32 v28, a0
	v_mad_u64_u32 v[8:9], s[4:5], v28, s4, v[0:1]
	global_load_dwordx4 v[2:5], v[8:9], off offset:3472
	global_load_dwordx4 v[84:87], v[8:9], off offset:3456
	;; [unrolled: 1-line block ×4, first 2 shown]
	s_movk_i32 s4, 0x17a0
	v_add_co_u32_e32 v14, vcc, s4, v8
	v_addc_co_u32_e32 v15, vcc, 0, v9, vcc
	s_movk_i32 s4, 0x2f40
	v_subrev_u32_e32 v28, 27, v28
	v_cndmask_b32_e64 v28, v28, v150, s[0:1]
	v_mul_hi_i32_i24_e32 v29, 0x60, v28
	v_mul_i32_i24_e32 v28, 0x60, v28
	s_mov_b32 s6, 0x37e14327
	s_mov_b32 s16, 0xe976ee23
	;; [unrolled: 1-line block ×16, first 2 shown]
	s_waitcnt vmcnt(3) lgkmcnt(0)
	v_mul_f64 v[242:243], v[96:97], v[4:5]
	v_fmac_f64_e32 v[242:243], v[98:99], v[2:3]
	s_waitcnt vmcnt(1)
	v_mul_f64 v[234:235], v[104:105], v[90:91]
	s_waitcnt vmcnt(0)
	v_mul_f64 v[0:1], v[130:131], v[102:103]
	v_fma_f64 v[228:229], v[128:129], v[100:101], -v[0:1]
	v_mul_f64 v[0:1], v[106:107], v[90:91]
	v_fma_f64 v[232:233], v[104:105], v[88:89], -v[0:1]
	;; [unrolled: 2-line block ×3, first 2 shown]
	v_mul_f64 v[0:1], v[98:99], v[4:5]
	v_fmac_f64_e32 v[234:235], v[106:107], v[88:89]
	v_fma_f64 v[240:241], v[96:97], v[2:3], -v[0:1]
	global_load_dwordx4 v[96:99], v[8:9], off offset:3504
	global_load_dwordx4 v[104:107], v[8:9], off offset:3488
	v_mul_f64 v[230:231], v[128:129], v[102:103]
	v_mul_f64 v[238:239], v[120:121], v[86:87]
	v_fmac_f64_e32 v[230:231], v[130:131], v[100:101]
	v_fmac_f64_e32 v[238:239], v[122:123], v[84:85]
	v_accvgpr_write_b32 a43, v5
	v_accvgpr_write_b32 a42, v4
	;; [unrolled: 1-line block ×4, first 2 shown]
	s_waitcnt vmcnt(1)
	v_mul_f64 v[50:51], v[108:109], v[98:99]
	s_waitcnt vmcnt(0)
	v_mul_f64 v[0:1], v[114:115], v[106:107]
	v_fma_f64 v[44:45], v[112:113], v[104:105], -v[0:1]
	v_mul_f64 v[46:47], v[112:113], v[106:107]
	v_mul_f64 v[0:1], v[110:111], v[98:99]
	v_fmac_f64_e32 v[46:47], v[114:115], v[104:105]
	v_fma_f64 v[48:49], v[108:109], v[96:97], -v[0:1]
	v_fmac_f64_e32 v[50:51], v[110:111], v[96:97]
	global_load_dwordx4 v[108:111], v[14:15], off offset:3472
	global_load_dwordx4 v[112:115], v[14:15], off offset:3456
	;; [unrolled: 1-line block ×4, first 2 shown]
	s_waitcnt vmcnt(3)
	v_mul_f64 v[226:227], v[124:125], v[110:111]
	s_waitcnt vmcnt(2)
	v_mul_f64 v[16:17], v[146:147], v[114:115]
	;; [unrolled: 2-line block ×3, first 2 shown]
	v_mul_f64 v[6:7], v[132:133], v[122:123]
	v_fma_f64 v[220:221], v[144:145], v[112:113], -v[16:17]
	v_mul_f64 v[16:17], v[126:127], v[110:111]
	v_fma_f64 v[4:5], v[132:133], v[120:121], -v[4:5]
	v_fmac_f64_e32 v[6:7], v[134:135], v[120:121]
	v_fma_f64 v[224:225], v[124:125], v[108:109], -v[16:17]
	v_fmac_f64_e32 v[226:227], v[126:127], v[108:109]
	global_load_dwordx4 v[124:127], v[14:15], off offset:3504
	global_load_dwordx4 v[132:135], v[14:15], off offset:3488
	s_waitcnt vmcnt(2)
	v_mul_f64 v[0:1], v[158:159], v[130:131]
	v_mul_f64 v[2:3], v[156:157], v[130:131]
	v_mul_f64 v[222:223], v[144:145], v[114:115]
	v_fma_f64 v[0:1], v[156:157], v[128:129], -v[0:1]
	v_fmac_f64_e32 v[2:3], v[158:159], v[128:129]
	v_fmac_f64_e32 v[222:223], v[146:147], v[112:113]
	s_waitcnt vmcnt(1)
	v_mul_f64 v[26:27], v[136:137], v[126:127]
	s_waitcnt vmcnt(0)
	v_mul_f64 v[14:15], v[142:143], v[134:135]
	v_fma_f64 v[20:21], v[140:141], v[132:133], -v[14:15]
	v_mul_f64 v[14:15], v[138:139], v[126:127]
	v_fma_f64 v[24:25], v[136:137], v[124:125], -v[14:15]
	v_add_co_u32_e32 v14, vcc, s4, v8
	v_mul_f64 v[22:23], v[140:141], v[134:135]
	v_addc_co_u32_e32 v15, vcc, 0, v9, vcc
	v_fmac_f64_e32 v[22:23], v[142:143], v[132:133]
	v_fmac_f64_e32 v[26:27], v[138:139], v[124:125]
	global_load_dwordx4 v[136:139], v[14:15], off offset:3472
	global_load_dwordx4 v[140:143], v[14:15], off offset:3456
	;; [unrolled: 1-line block ×4, first 2 shown]
	v_add_co_u32_e32 v52, vcc, s14, v28
	v_mov_b32_e32 v28, s15
	v_addc_co_u32_e32 v53, vcc, v28, v29, vcc
	s_mov_b32 s4, 0x36b3c0b5
	s_mov_b32 s5, 0x3fac98ee
	;; [unrolled: 1-line block ×4, first 2 shown]
	s_waitcnt vmcnt(2)
	v_mul_f64 v[254:255], v[152:153], v[142:143]
	v_fmac_f64_e32 v[254:255], v[154:155], v[140:141]
	s_waitcnt vmcnt(0)
	v_mul_f64 v[8:9], v[214:215], v[158:159]
	v_fma_f64 v[244:245], v[212:213], v[156:157], -v[8:9]
	v_mul_f64 v[8:9], v[210:211], v[146:147]
	v_fma_f64 v[248:249], v[208:209], v[144:145], -v[8:9]
	;; [unrolled: 2-line block ×3, first 2 shown]
	global_load_dwordx4 v[80:83], v[14:15], off offset:3504
	global_load_dwordx4 v[152:155], v[14:15], off offset:3488
	;; [unrolled: 1-line block ×6, first 2 shown]
	v_mul_f64 v[8:9], v[12:13], v[138:139]
	v_fma_f64 v[8:9], v[10:11], v[136:137], -v[8:9]
	v_mul_f64 v[10:11], v[10:11], v[138:139]
	v_fmac_f64_e32 v[10:11], v[12:13], v[136:137]
	v_mul_f64 v[250:251], v[208:209], v[146:147]
	v_mul_f64 v[246:247], v[212:213], v[158:159]
	v_fmac_f64_e32 v[246:247], v[214:215], v[156:157]
	v_fmac_f64_e32 v[250:251], v[210:211], v[144:145]
	s_waitcnt vmcnt(5)
	v_mul_f64 v[16:17], v[202:203], v[82:83]
	s_waitcnt vmcnt(4)
	v_mul_f64 v[12:13], v[206:207], v[154:155]
	;; [unrolled: 2-line block ×3, first 2 shown]
	v_fma_f64 v[28:29], v[188:189], v[32:33], -v[28:29]
	v_mul_f64 v[30:31], v[188:189], v[34:35]
	buffer_store_dword v32, off, s[36:39], 0 offset:620 ; 4-byte Folded Spill
	s_nop 0
	buffer_store_dword v33, off, s[36:39], 0 offset:624 ; 4-byte Folded Spill
	buffer_store_dword v34, off, s[36:39], 0 offset:628 ; 4-byte Folded Spill
	;; [unrolled: 1-line block ×3, first 2 shown]
	v_mul_f64 v[34:35], v[168:169], v[38:39]
	v_add_f64 v[188:189], v[240:241], -v[236:237]
	v_fma_f64 v[16:17], v[200:201], v[80:81], -v[16:17]
	v_mul_f64 v[18:19], v[200:201], v[82:83]
	v_fma_f64 v[12:13], v[204:205], v[152:153], -v[12:13]
	v_mul_f64 v[14:15], v[204:205], v[154:155]
	v_fmac_f64_e32 v[18:19], v[202:203], v[80:81]
	v_fmac_f64_e32 v[14:15], v[206:207], v[152:153]
	;; [unrolled: 1-line block ×3, first 2 shown]
	v_mul_f64 v[32:33], v[170:171], v[38:39]
	v_fma_f64 v[32:33], v[168:169], v[36:37], -v[32:33]
	buffer_store_dword v36, off, s[36:39], 0 offset:588 ; 4-byte Folded Spill
	s_nop 0
	buffer_store_dword v37, off, s[36:39], 0 offset:592 ; 4-byte Folded Spill
	buffer_store_dword v38, off, s[36:39], 0 offset:596 ; 4-byte Folded Spill
	buffer_store_dword v39, off, s[36:39], 0 offset:600 ; 4-byte Folded Spill
	v_mul_f64 v[38:39], v[192:193], v[42:43]
	v_add_f64 v[190:191], v[242:243], -v[238:239]
	v_fmac_f64_e32 v[34:35], v[170:171], v[36:37]
	v_mul_f64 v[36:37], v[194:195], v[42:43]
	v_fma_f64 v[36:37], v[192:193], v[40:41], -v[36:37]
	buffer_store_dword v40, off, s[36:39], 0 offset:604 ; 4-byte Folded Spill
	s_nop 0
	buffer_store_dword v41, off, s[36:39], 0 offset:608 ; 4-byte Folded Spill
	buffer_store_dword v42, off, s[36:39], 0 offset:612 ; 4-byte Folded Spill
	;; [unrolled: 1-line block ×3, first 2 shown]
	v_mul_f64 v[42:43], v[196:197], v[56:57]
	v_fmac_f64_e32 v[38:39], v[194:195], v[40:41]
	v_mul_f64 v[40:41], v[198:199], v[56:57]
	v_fma_f64 v[40:41], v[196:197], v[54:55], -v[40:41]
	buffer_store_dword v54, off, s[36:39], 0 offset:636 ; 4-byte Folded Spill
	s_nop 0
	buffer_store_dword v55, off, s[36:39], 0 offset:640 ; 4-byte Folded Spill
	buffer_store_dword v56, off, s[36:39], 0 offset:644 ; 4-byte Folded Spill
	;; [unrolled: 1-line block ×3, first 2 shown]
	global_load_dwordx4 v[168:171], v[52:53], off offset:3504
	s_nop 0
	global_load_dwordx4 v[56:59], v[52:53], off offset:3488
	v_fmac_f64_e32 v[42:43], v[198:199], v[54:55]
	s_waitcnt vmcnt(0)
	v_mul_f64 v[52:53], v[182:183], v[58:59]
	v_fma_f64 v[52:53], v[180:181], v[56:57], -v[52:53]
	v_mul_f64 v[54:55], v[180:181], v[58:59]
	buffer_store_dword v56, off, s[36:39], 0 offset:652 ; 4-byte Folded Spill
	s_nop 0
	buffer_store_dword v57, off, s[36:39], 0 offset:656 ; 4-byte Folded Spill
	buffer_store_dword v58, off, s[36:39], 0 offset:660 ; 4-byte Folded Spill
	;; [unrolled: 1-line block ×3, first 2 shown]
	v_mul_f64 v[58:59], v[184:185], v[170:171]
	v_add_f64 v[180:181], v[232:233], v[44:45]
	v_add_f64 v[44:45], v[232:233], -v[44:45]
	v_add_f64 v[204:205], v[188:189], -v[44:45]
	v_fmac_f64_e32 v[54:55], v[182:183], v[56:57]
	v_mul_f64 v[56:57], v[186:187], v[170:171]
	v_fma_f64 v[56:57], v[184:185], v[168:169], -v[56:57]
	buffer_store_dword v168, off, s[36:39], 0 offset:668 ; 4-byte Folded Spill
	s_nop 0
	buffer_store_dword v169, off, s[36:39], 0 offset:672 ; 4-byte Folded Spill
	buffer_store_dword v170, off, s[36:39], 0 offset:676 ; 4-byte Folded Spill
	;; [unrolled: 1-line block ×3, first 2 shown]
	v_add_f64 v[170:171], v[230:231], v[50:51]
	v_add_f64 v[182:183], v[234:235], v[46:47]
	;; [unrolled: 1-line block ×3, first 2 shown]
	v_add_f64 v[46:47], v[234:235], -v[46:47]
	v_add_f64 v[194:195], v[182:183], v[170:171]
	v_add_f64 v[50:51], v[230:231], -v[50:51]
	v_add_f64 v[198:199], v[182:183], -v[170:171]
	;; [unrolled: 1-line block ×3, first 2 shown]
	v_fmac_f64_e32 v[58:59], v[186:187], v[168:169]
	v_add_f64 v[168:169], v[228:229], v[48:49]
	v_add_f64 v[192:193], v[180:181], v[168:169]
	v_add_f64 v[48:49], v[228:229], -v[48:49]
	v_add_f64 v[186:187], v[238:239], v[242:243]
	v_add_f64 v[196:197], v[180:181], -v[168:169]
	v_add_f64 v[200:201], v[168:169], -v[184:185]
	v_add_f64 v[180:181], v[184:185], -v[180:181]
	v_add_f64 v[168:169], v[188:189], v[44:45]
	v_add_f64 v[184:185], v[184:185], v[192:193]
	v_add_f64 v[202:203], v[170:171], -v[186:187]
	v_add_f64 v[182:183], v[186:187], -v[182:183]
	v_add_f64 v[170:171], v[190:191], v[46:47]
	v_add_f64 v[188:189], v[48:49], -v[188:189]
	v_add_f64 v[44:45], v[44:45], -v[48:49]
	v_add_f64 v[186:187], v[186:187], v[194:195]
	v_add_f64 v[48:49], v[168:169], v[48:49]
	;; [unrolled: 1-line block ×3, first 2 shown]
	v_add_f64 v[190:191], v[50:51], -v[190:191]
	v_add_f64 v[46:47], v[46:47], -v[50:51]
	v_add_f64 v[50:51], v[170:171], v[50:51]
	v_add_f64 v[170:171], v[178:179], v[186:187]
	v_pk_mov_b32 v[208:209], v[168:169], v[168:169] op_sel:[0,1]
	v_mul_f64 v[176:177], v[200:201], s[6:7]
	v_mul_f64 v[192:193], v[180:181], s[4:5]
	;; [unrolled: 1-line block ×4, first 2 shown]
	v_fmac_f64_e32 v[208:209], s[18:19], v[184:185]
	v_pk_mov_b32 v[184:185], v[170:171], v[170:171] op_sel:[0,1]
	v_mul_f64 v[178:179], v[202:203], s[6:7]
	v_mul_f64 v[202:203], v[206:207], s[16:17]
	;; [unrolled: 1-line block ×4, first 2 shown]
	v_fmac_f64_e32 v[184:185], s[18:19], v[186:187]
	v_fma_f64 v[186:187], v[196:197], s[20:21], -v[192:193]
	v_fma_f64 v[192:193], v[198:199], s[20:21], -v[194:195]
	;; [unrolled: 1-line block ×4, first 2 shown]
	v_fmac_f64_e32 v[176:177], s[4:5], v[180:181]
	v_fma_f64 v[180:181], v[198:199], s[22:23], -v[178:179]
	v_fmac_f64_e32 v[178:179], s[4:5], v[182:183]
	v_fmac_f64_e32 v[200:201], s[24:25], v[188:189]
	v_fma_f64 v[46:47], v[46:47], s[14:15], -v[202:203]
	v_fmac_f64_e32 v[202:203], s[24:25], v[190:191]
	v_fma_f64 v[198:199], v[190:191], s[28:29], -v[206:207]
	v_add_f64 v[190:191], v[192:193], v[184:185]
	v_fmac_f64_e32 v[44:45], s[26:27], v[48:49]
	v_fma_f64 v[196:197], v[188:189], s[28:29], -v[204:205]
	v_add_f64 v[206:207], v[178:179], v[184:185]
	v_add_f64 v[188:189], v[186:187], v[208:209]
	v_add_f64 v[192:193], v[194:195], v[208:209]
	v_fmac_f64_e32 v[200:201], s[26:27], v[48:49]
	v_fmac_f64_e32 v[46:47], s[26:27], v[50:51]
	;; [unrolled: 1-line block ×3, first 2 shown]
	v_add_f64 v[186:187], v[44:45], v[190:191]
	v_add_f64 v[190:191], v[190:191], -v[44:45]
	v_add_f64 v[44:45], v[0:1], v[24:25]
	v_add_f64 v[0:1], v[0:1], -v[24:25]
	v_add_f64 v[24:25], v[4:5], v[20:21]
	v_add_f64 v[204:205], v[176:177], v[208:209]
	;; [unrolled: 1-line block ×3, first 2 shown]
	v_fmac_f64_e32 v[202:203], s[26:27], v[50:51]
	v_fmac_f64_e32 v[196:197], s[26:27], v[48:49]
	v_add_f64 v[178:179], v[206:207], -v[200:201]
	v_add_f64 v[180:181], v[198:199], v[192:193]
	v_add_f64 v[184:185], v[188:189], -v[46:47]
	v_add_f64 v[188:189], v[46:47], v[188:189]
	v_add_f64 v[192:193], v[192:193], -v[198:199]
	v_add_f64 v[198:199], v[200:201], v[206:207]
	v_add_f64 v[46:47], v[2:3], v[26:27]
	v_add_f64 v[2:3], v[2:3], -v[26:27]
	v_add_f64 v[26:27], v[6:7], v[22:23]
	v_add_f64 v[4:5], v[4:5], -v[20:21]
	v_add_f64 v[20:21], v[220:221], v[224:225]
	v_add_f64 v[200:201], v[24:25], v[44:45]
	;; [unrolled: 1-line block ×3, first 2 shown]
	v_add_f64 v[182:183], v[194:195], -v[196:197]
	v_add_f64 v[194:195], v[196:197], v[194:195]
	v_add_f64 v[196:197], v[204:205], -v[202:203]
	v_add_f64 v[6:7], v[6:7], -v[22:23]
	v_add_f64 v[22:23], v[222:223], v[226:227]
	v_add_f64 v[48:49], v[224:225], -v[220:221]
	v_add_f64 v[202:203], v[26:27], v[46:47]
	v_add_f64 v[204:205], v[24:25], -v[44:45]
	v_add_f64 v[44:45], v[44:45], -v[20:21]
	;; [unrolled: 1-line block ×3, first 2 shown]
	v_add_f64 v[20:21], v[20:21], v[200:201]
	v_add_f64 v[206:207], v[26:27], -v[46:47]
	v_add_f64 v[46:47], v[46:47], -v[22:23]
	v_add_f64 v[26:27], v[22:23], -v[26:27]
	v_add_f64 v[212:213], v[48:49], -v[4:5]
	v_add_f64 v[22:23], v[22:23], v[202:203]
	v_add_f64 v[172:173], v[172:173], v[20:21]
	v_add_f64 v[50:51], v[226:227], -v[222:223]
	v_add_f64 v[208:209], v[48:49], v[4:5]
	v_add_f64 v[4:5], v[4:5], -v[0:1]
	v_add_f64 v[174:175], v[174:175], v[22:23]
	v_mul_f64 v[224:225], v[212:213], s[16:17]
	v_pk_mov_b32 v[212:213], v[172:173], v[172:173] op_sel:[0,1]
	v_add_f64 v[210:211], v[50:51], v[6:7]
	v_add_f64 v[214:215], v[50:51], -v[6:7]
	v_add_f64 v[48:49], v[0:1], -v[48:49]
	;; [unrolled: 1-line block ×3, first 2 shown]
	v_add_f64 v[0:1], v[208:209], v[0:1]
	v_mul_f64 v[44:45], v[44:45], s[6:7]
	v_mul_f64 v[46:47], v[46:47], s[6:7]
	;; [unrolled: 1-line block ×5, first 2 shown]
	v_fmac_f64_e32 v[212:213], s[18:19], v[20:21]
	v_pk_mov_b32 v[20:21], v[174:175], v[174:175] op_sel:[0,1]
	v_add_f64 v[50:51], v[2:3], -v[50:51]
	v_add_f64 v[2:3], v[210:211], v[2:3]
	v_mul_f64 v[226:227], v[214:215], s[16:17]
	v_mul_f64 v[210:211], v[6:7], s[14:15]
	v_fmac_f64_e32 v[20:21], s[18:19], v[22:23]
	v_fma_f64 v[22:23], v[204:205], s[20:21], -v[200:201]
	v_fma_f64 v[200:201], v[206:207], s[20:21], -v[202:203]
	;; [unrolled: 1-line block ×3, first 2 shown]
	v_fmac_f64_e32 v[44:45], s[4:5], v[24:25]
	v_fma_f64 v[24:25], v[206:207], s[22:23], -v[46:47]
	v_fmac_f64_e32 v[46:47], s[4:5], v[26:27]
	v_fma_f64 v[4:5], v[4:5], s[14:15], -v[224:225]
	v_fma_f64 v[26:27], v[48:49], s[28:29], -v[208:209]
	v_fmac_f64_e32 v[224:225], s[24:25], v[48:49]
	v_fma_f64 v[6:7], v[6:7], s[14:15], -v[226:227]
	v_fmac_f64_e32 v[226:227], s[24:25], v[50:51]
	v_fma_f64 v[48:49], v[50:51], s[28:29], -v[210:211]
	v_add_f64 v[46:47], v[46:47], v[20:21]
	v_add_f64 v[50:51], v[200:201], v[20:21]
	;; [unrolled: 1-line block ×3, first 2 shown]
	v_fmac_f64_e32 v[4:5], s[26:27], v[0:1]
	v_fmac_f64_e32 v[26:27], s[26:27], v[0:1]
	v_add_f64 v[44:45], v[44:45], v[212:213]
	v_add_f64 v[22:23], v[22:23], v[212:213]
	v_fmac_f64_e32 v[226:227], s[26:27], v[2:3]
	v_fmac_f64_e32 v[6:7], s[26:27], v[2:3]
	v_add_f64 v[206:207], v[20:21], -v[26:27]
	v_add_f64 v[210:211], v[4:5], v[50:51]
	v_add_f64 v[214:215], v[50:51], -v[4:5]
	v_add_f64 v[222:223], v[26:27], v[20:21]
	v_add_f64 v[4:5], v[244:245], v[16:17]
	;; [unrolled: 1-line block ×4, first 2 shown]
	v_fmac_f64_e32 v[224:225], s[26:27], v[0:1]
	v_add_f64 v[200:201], v[226:227], v[44:45]
	v_add_f64 v[208:209], v[22:23], -v[6:7]
	v_add_f64 v[212:213], v[6:7], v[22:23]
	v_add_f64 v[0:1], v[44:45], -v[226:227]
	v_add_f64 v[6:7], v[246:247], v[18:19]
	v_add_f64 v[22:23], v[250:251], v[14:15]
	v_add_f64 v[24:25], v[252:253], v[8:9]
	v_add_f64 v[44:45], v[20:21], v[4:5]
	v_fmac_f64_e32 v[48:49], s[26:27], v[2:3]
	v_add_f64 v[202:203], v[46:47], -v[224:225]
	v_add_f64 v[2:3], v[224:225], v[46:47]
	v_add_f64 v[12:13], v[248:249], -v[12:13]
	v_add_f64 v[26:27], v[254:255], v[10:11]
	;; [unrolled: 2-line block ×3, first 2 shown]
	v_add_f64 v[44:45], v[24:25], v[44:45]
	v_add_f64 v[204:205], v[48:49], v[220:221]
	v_add_f64 v[220:221], v[220:221], -v[48:49]
	v_add_f64 v[14:15], v[250:251], -v[14:15]
	v_add_f64 v[10:11], v[10:11], -v[254:255]
	v_add_f64 v[48:49], v[20:21], -v[4:5]
	v_add_f64 v[4:5], v[4:5], -v[24:25]
	v_add_f64 v[20:21], v[24:25], -v[20:21]
	v_add_f64 v[228:229], v[8:9], -v[12:13]
	v_add_f64 v[46:47], v[26:27], v[46:47]
	v_add_f64 v[24:25], v[164:165], v[44:45]
	v_add_f64 v[16:17], v[244:245], -v[16:17]
	v_add_f64 v[18:19], v[246:247], -v[18:19]
	;; [unrolled: 1-line block ×6, first 2 shown]
	v_add_f64 v[26:27], v[166:167], v[46:47]
	v_mul_f64 v[234:235], v[228:229], s[16:17]
	v_pk_mov_b32 v[228:229], v[24:25], v[24:25] op_sel:[0,1]
	v_add_f64 v[224:225], v[8:9], v[12:13]
	v_add_f64 v[226:227], v[10:11], v[14:15]
	v_add_f64 v[10:11], v[18:19], -v[10:11]
	v_add_f64 v[12:13], v[12:13], -v[16:17]
	;; [unrolled: 1-line block ×3, first 2 shown]
	v_mul_f64 v[4:5], v[4:5], s[6:7]
	v_mul_f64 v[164:165], v[20:21], s[4:5]
	;; [unrolled: 1-line block ×4, first 2 shown]
	v_fmac_f64_e32 v[228:229], s[18:19], v[44:45]
	v_pk_mov_b32 v[44:45], v[26:27], v[26:27] op_sel:[0,1]
	v_add_f64 v[8:9], v[16:17], -v[8:9]
	v_add_f64 v[16:17], v[224:225], v[16:17]
	v_add_f64 v[18:19], v[226:227], v[18:19]
	v_mul_f64 v[6:7], v[6:7], s[6:7]
	v_mul_f64 v[224:225], v[12:13], s[14:15]
	;; [unrolled: 1-line block ×3, first 2 shown]
	v_fmac_f64_e32 v[44:45], s[18:19], v[46:47]
	v_fma_f64 v[46:47], v[48:49], s[20:21], -v[164:165]
	v_fma_f64 v[164:165], v[50:51], s[20:21], -v[166:167]
	v_fma_f64 v[48:49], v[48:49], s[22:23], -v[4:5]
	v_fmac_f64_e32 v[4:5], s[4:5], v[20:21]
	v_fma_f64 v[12:13], v[12:13], s[14:15], -v[234:235]
	v_fma_f64 v[14:15], v[14:15], s[14:15], -v[232:233]
	v_fmac_f64_e32 v[232:233], s[24:25], v[10:11]
	v_fma_f64 v[20:21], v[50:51], s[22:23], -v[6:7]
	v_fmac_f64_e32 v[6:7], s[4:5], v[22:23]
	v_fmac_f64_e32 v[234:235], s[24:25], v[8:9]
	v_fma_f64 v[8:9], v[8:9], s[28:29], -v[224:225]
	v_fma_f64 v[10:11], v[10:11], s[28:29], -v[226:227]
	v_add_f64 v[4:5], v[4:5], v[228:229]
	v_add_f64 v[226:227], v[164:165], v[44:45]
	v_fmac_f64_e32 v[232:233], s[26:27], v[18:19]
	v_fmac_f64_e32 v[12:13], s[26:27], v[16:17]
	v_add_f64 v[6:7], v[6:7], v[44:45]
	v_add_f64 v[22:23], v[46:47], v[228:229]
	v_add_f64 v[228:229], v[48:49], v[228:229]
	v_add_f64 v[20:21], v[20:21], v[44:45]
	v_fmac_f64_e32 v[234:235], s[26:27], v[16:17]
	v_fmac_f64_e32 v[14:15], s[26:27], v[18:19]
	;; [unrolled: 1-line block ×4, first 2 shown]
	v_add_f64 v[44:45], v[232:233], v[4:5]
	v_add_f64 v[166:167], v[12:13], v[226:227]
	v_add_f64 v[226:227], v[226:227], -v[12:13]
	v_add_f64 v[232:233], v[4:5], -v[232:233]
	v_add_f64 v[4:5], v[28:29], v[56:57]
	v_add_f64 v[12:13], v[32:33], v[52:53]
	v_add_f64 v[46:47], v[6:7], -v[234:235]
	v_add_f64 v[48:49], v[10:11], v[228:229]
	v_add_f64 v[50:51], v[20:21], -v[8:9]
	v_add_f64 v[164:165], v[22:23], -v[14:15]
	v_add_f64 v[224:225], v[14:15], v[22:23]
	v_add_f64 v[228:229], v[228:229], -v[10:11]
	v_add_f64 v[230:231], v[8:9], v[20:21]
	v_add_f64 v[234:235], v[234:235], v[6:7]
	;; [unrolled: 1-line block ×3, first 2 shown]
	v_add_f64 v[8:9], v[28:29], -v[56:57]
	v_add_f64 v[10:11], v[30:31], -v[58:59]
	v_add_f64 v[14:15], v[34:35], v[54:55]
	v_add_f64 v[16:17], v[32:33], -v[52:53]
	v_add_f64 v[18:19], v[34:35], -v[54:55]
	v_add_f64 v[20:21], v[36:37], v[40:41]
	v_add_f64 v[22:23], v[38:39], v[42:43]
	v_add_f64 v[28:29], v[40:41], -v[36:37]
	v_add_f64 v[30:31], v[42:43], -v[38:39]
	v_add_f64 v[32:33], v[12:13], v[4:5]
	v_add_f64 v[34:35], v[14:15], v[6:7]
	v_add_f64 v[36:37], v[12:13], -v[4:5]
	v_add_f64 v[38:39], v[14:15], -v[6:7]
	;; [unrolled: 1-line block ×5, first 2 shown]
	v_add_f64 v[4:5], v[28:29], v[16:17]
	v_add_f64 v[6:7], v[30:31], v[18:19]
	v_add_f64 v[54:55], v[30:31], -v[18:19]
	v_add_f64 v[20:21], v[20:21], v[32:33]
	v_add_f64 v[14:15], v[22:23], -v[14:15]
	v_add_f64 v[52:53], v[28:29], -v[16:17]
	;; [unrolled: 1-line block ×6, first 2 shown]
	v_add_f64 v[22:23], v[22:23], v[34:35]
	v_add_f64 v[32:33], v[4:5], v[8:9]
	;; [unrolled: 1-line block ×4, first 2 shown]
	v_mul_f64 v[10:11], v[40:41], s[6:7]
	v_mul_f64 v[40:41], v[42:43], s[6:7]
	;; [unrolled: 1-line block ×4, first 2 shown]
	v_add_f64 v[6:7], v[162:163], v[22:23]
	v_mul_f64 v[56:57], v[14:15], s[4:5]
	v_mul_f64 v[52:53], v[52:53], s[16:17]
	v_mul_f64 v[54:55], v[16:17], s[14:15]
	v_fma_f64 v[20:21], s[18:19], v[20:21], v[4:5]
	v_fma_f64 v[42:43], v[36:37], s[20:21], -v[42:43]
	v_fma_f64 v[160:161], v[18:19], s[14:15], -v[8:9]
	v_mul_f64 v[58:59], v[18:19], s[14:15]
	v_fma_f64 v[22:23], s[18:19], v[22:23], v[6:7]
	v_fma_f64 v[12:13], s[4:5], v[12:13], v[10:11]
	v_fma_f64 v[56:57], v[38:39], s[20:21], -v[56:57]
	v_fma_f64 v[36:37], v[36:37], s[22:23], -v[10:11]
	v_fma_f64 v[10:11], s[24:25], v[28:29], v[52:53]
	v_fma_f64 v[52:53], v[16:17], s[14:15], -v[52:53]
	v_fma_f64 v[18:19], v[28:29], s[28:29], -v[54:55]
	v_add_f64 v[28:29], v[42:43], v[20:21]
	v_fmac_f64_e32 v[160:161], s[26:27], v[34:35]
	v_fma_f64 v[38:39], v[38:39], s[22:23], -v[40:41]
	v_fmac_f64_e32 v[40:41], s[4:5], v[14:15]
	v_fmac_f64_e32 v[8:9], s[24:25], v[30:31]
	v_fma_f64 v[16:17], v[30:31], s[28:29], -v[58:59]
	v_add_f64 v[30:31], v[56:57], v[22:23]
	v_fmac_f64_e32 v[10:11], s[26:27], v[32:33]
	v_fmac_f64_e32 v[52:53], s[26:27], v[32:33]
	;; [unrolled: 1-line block ×3, first 2 shown]
	v_add_f64 v[32:33], v[28:29], -v[160:161]
	v_add_f64 v[28:29], v[160:161], v[28:29]
	v_add_f64 v[14:15], v[40:41], v[22:23]
	;; [unrolled: 1-line block ×3, first 2 shown]
	v_fmac_f64_e32 v[8:9], s[26:27], v[34:35]
	v_fmac_f64_e32 v[16:17], s[26:27], v[34:35]
	v_add_f64 v[34:35], v[52:53], v[30:31]
	v_add_f64 v[30:31], v[30:31], -v[52:53]
	v_accvgpr_write_b32 a18, v28
	v_add_f64 v[12:13], v[12:13], v[20:21]
	v_add_f64 v[20:21], v[36:37], v[20:21]
	v_accvgpr_write_b32 a19, v29
	v_accvgpr_write_b32 a20, v30
	;; [unrolled: 1-line block ×3, first 2 shown]
	v_add_f64 v[30:31], v[18:19], v[22:23]
	v_add_f64 v[28:29], v[20:21], -v[16:17]
	v_accvgpr_write_b32 a33, v31
	v_accvgpr_write_b32 a32, v30
	;; [unrolled: 1-line block ×4, first 2 shown]
	v_add_f64 v[28:29], v[12:13], -v[8:9]
	v_accvgpr_write_b32 a2, v32
	v_add_f64 v[30:31], v[10:11], v[14:15]
	v_accvgpr_write_b32 a14, v28
	v_accvgpr_write_b32 a3, v33
	;; [unrolled: 1-line block ×7, first 2 shown]
	ds_write_b128 v148, v[168:171]
	ds_write_b128 v148, v[176:179] offset:3456
	ds_write_b128 v148, v[180:183] offset:6912
	;; [unrolled: 1-line block ×20, first 2 shown]
	s_and_saveexec_b64 s[4:5], s[0:1]
	s_cbranch_execz .LBB0_5
; %bb.4:
	v_add_f64 v[2:3], v[22:23], -v[18:19]
	v_add_f64 v[0:1], v[16:17], v[20:21]
	v_add_f64 v[10:11], v[14:15], -v[10:11]
	v_add_f64 v[8:9], v[8:9], v[12:13]
	ds_write_b128 v148, v[4:7] offset:3024
	ds_write_b128 v148, v[8:11] offset:6480
	;; [unrolled: 1-line block ×7, first 2 shown]
.LBB0_5:
	s_or_b64 exec, exec, s[4:5]
	v_accvgpr_read_b32 v0, a0
	v_lshlrev_b32_e32 v0, 4, v0
	v_add_co_u32_e32 v6, vcc, s12, v0
	v_mov_b32_e32 v0, s13
	v_addc_co_u32_e32 v7, vcc, 0, v0, vcc
	s_movk_i32 s4, 0x5e80
	v_add_co_u32_e32 v2, vcc, s4, v6
	v_addc_co_u32_e32 v3, vcc, 0, v7, vcc
	s_movk_i32 s4, 0x5000
	v_add_co_u32_e32 v0, vcc, s4, v6
	v_addc_co_u32_e32 v1, vcc, 0, v7, vcc
	s_waitcnt lgkmcnt(0)
	; wave barrier
	s_waitcnt lgkmcnt(0)
	global_load_dwordx4 v[12:15], v[0:1], off offset:3712
	ds_read_b128 v[8:11], v148
	ds_read_b128 v[160:163], v148 offset:9072
	s_mov_b32 s4, 0x8000
	v_accvgpr_read_b32 v50, a238
	v_accvgpr_read_b32 v52, a240
	;; [unrolled: 1-line block ×10, first 2 shown]
	s_mov_b32 s7, 0x3febb67a
	s_waitcnt vmcnt(0) lgkmcnt(1)
	v_mul_f64 v[0:1], v[10:11], v[14:15]
	v_fma_f64 v[16:17], v[8:9], v[12:13], -v[0:1]
	v_add_co_u32_e32 v0, vcc, s4, v6
	v_mul_f64 v[18:19], v[8:9], v[14:15]
	v_addc_co_u32_e32 v1, vcc, 0, v7, vcc
	v_fmac_f64_e32 v[18:19], v[10:11], v[12:13]
	global_load_dwordx4 v[12:15], v[0:1], off offset:3520
	ds_read_b128 v[8:11], v148 offset:12096
	ds_write_b128 v148, v[16:19]
	s_mov_b32 s4, 0x9000
	s_waitcnt vmcnt(0) lgkmcnt(1)
	v_mul_f64 v[4:5], v[10:11], v[14:15]
	v_mul_f64 v[18:19], v[8:9], v[14:15]
	v_fma_f64 v[16:17], v[8:9], v[12:13], -v[4:5]
	v_fmac_f64_e32 v[18:19], v[10:11], v[12:13]
	global_load_dwordx4 v[12:15], v[2:3], off offset:1008
	ds_read_b128 v[8:11], v148 offset:1008
	ds_write_b128 v148, v[16:19] offset:12096
	s_waitcnt vmcnt(0) lgkmcnt(1)
	v_mul_f64 v[4:5], v[10:11], v[14:15]
	v_fma_f64 v[16:17], v[8:9], v[12:13], -v[4:5]
	v_add_co_u32_e32 v4, vcc, s4, v6
	v_mul_f64 v[18:19], v[8:9], v[14:15]
	v_addc_co_u32_e32 v5, vcc, 0, v7, vcc
	v_fmac_f64_e32 v[18:19], v[10:11], v[12:13]
	global_load_dwordx4 v[12:15], v[4:5], off offset:432
	ds_read_b128 v[8:11], v148 offset:13104
	ds_write_b128 v148, v[16:19] offset:1008
	s_movk_i32 s4, 0x7000
	s_waitcnt vmcnt(0) lgkmcnt(1)
	v_mul_f64 v[16:17], v[10:11], v[14:15]
	v_mul_f64 v[18:19], v[8:9], v[14:15]
	v_fma_f64 v[16:17], v[8:9], v[12:13], -v[16:17]
	v_fmac_f64_e32 v[18:19], v[10:11], v[12:13]
	global_load_dwordx4 v[12:15], v[2:3], off offset:2016
	ds_read_b128 v[8:11], v148 offset:2016
	ds_write_b128 v148, v[16:19] offset:13104
	s_waitcnt vmcnt(0) lgkmcnt(1)
	v_mul_f64 v[16:17], v[10:11], v[14:15]
	v_mul_f64 v[18:19], v[8:9], v[14:15]
	v_fma_f64 v[16:17], v[8:9], v[12:13], -v[16:17]
	v_fmac_f64_e32 v[18:19], v[10:11], v[12:13]
	global_load_dwordx4 v[12:15], v[4:5], off offset:1440
	ds_read_b128 v[8:11], v148 offset:14112
	ds_write_b128 v148, v[16:19] offset:2016
	;; [unrolled: 8-line block ×5, first 2 shown]
	s_waitcnt vmcnt(0) lgkmcnt(1)
	v_mul_f64 v[2:3], v[10:11], v[14:15]
	v_fma_f64 v[16:17], v[8:9], v[12:13], -v[2:3]
	global_load_dwordx4 v[2:5], v[4:5], off offset:3456
	v_mul_f64 v[18:19], v[8:9], v[14:15]
	v_fmac_f64_e32 v[18:19], v[10:11], v[12:13]
	ds_read_b128 v[8:11], v148 offset:16128
	ds_write_b128 v148, v[16:19] offset:4032
	v_add_co_u32_e32 v16, vcc, s4, v6
	v_addc_co_u32_e32 v17, vcc, 0, v7, vcc
	s_mov_b32 s4, 0xa000
	v_add_co_u32_e32 v18, vcc, s4, v6
	v_addc_co_u32_e32 v19, vcc, 0, v7, vcc
	s_mov_b32 s4, 0xb000
	s_waitcnt vmcnt(0) lgkmcnt(1)
	v_mul_f64 v[12:13], v[10:11], v[4:5]
	v_mul_f64 v[14:15], v[8:9], v[4:5]
	v_fma_f64 v[12:13], v[8:9], v[2:3], -v[12:13]
	v_fmac_f64_e32 v[14:15], v[10:11], v[2:3]
	global_load_dwordx4 v[8:11], v[16:17], off offset:560
	ds_read_b128 v[2:5], v148 offset:5040
	ds_write_b128 v148, v[12:15] offset:16128
	s_waitcnt vmcnt(0) lgkmcnt(1)
	v_mul_f64 v[12:13], v[4:5], v[10:11]
	v_mul_f64 v[14:15], v[2:3], v[10:11]
	v_fma_f64 v[12:13], v[2:3], v[8:9], -v[12:13]
	v_fmac_f64_e32 v[14:15], v[4:5], v[8:9]
	global_load_dwordx4 v[8:11], v[18:19], off offset:368
	ds_read_b128 v[2:5], v148 offset:17136
	ds_write_b128 v148, v[12:15] offset:5040
	;; [unrolled: 8-line block ×8, first 2 shown]
	s_waitcnt vmcnt(0) lgkmcnt(1)
	v_mul_f64 v[12:13], v[4:5], v[10:11]
	v_mul_f64 v[14:15], v[2:3], v[10:11]
	v_fma_f64 v[12:13], v[2:3], v[8:9], -v[12:13]
	v_fmac_f64_e32 v[14:15], v[4:5], v[8:9]
	global_load_dwordx4 v[2:5], v[0:1], off offset:496
	ds_write_b128 v148, v[12:15] offset:20160
	v_add_co_u32_e32 v14, vcc, s4, v6
	v_addc_co_u32_e32 v15, vcc, 0, v7, vcc
	s_mov_b32 s4, 0xe8584caa
	s_mov_b32 s5, 0xbfebb67a
	;; [unrolled: 1-line block ×3, first 2 shown]
	s_waitcnt vmcnt(0)
	v_mul_f64 v[8:9], v[162:163], v[4:5]
	v_mul_f64 v[10:11], v[160:161], v[4:5]
	v_fma_f64 v[8:9], v[160:161], v[2:3], -v[8:9]
	v_fmac_f64_e32 v[10:11], v[162:163], v[2:3]
	ds_write_b128 v148, v[8:11] offset:9072
	global_load_dwordx4 v[6:9], v[14:15], off offset:304
	ds_read_b128 v[2:5], v148 offset:21168
	s_waitcnt vmcnt(0) lgkmcnt(0)
	v_mul_f64 v[10:11], v[4:5], v[8:9]
	v_mul_f64 v[12:13], v[2:3], v[8:9]
	v_fma_f64 v[10:11], v[2:3], v[6:7], -v[10:11]
	v_fmac_f64_e32 v[12:13], v[4:5], v[6:7]
	global_load_dwordx4 v[6:9], v[0:1], off offset:1504
	ds_read_b128 v[2:5], v148 offset:10080
	ds_write_b128 v148, v[10:13] offset:21168
	s_waitcnt vmcnt(0) lgkmcnt(1)
	v_mul_f64 v[10:11], v[4:5], v[8:9]
	v_mul_f64 v[12:13], v[2:3], v[8:9]
	v_fma_f64 v[10:11], v[2:3], v[6:7], -v[10:11]
	v_fmac_f64_e32 v[12:13], v[4:5], v[6:7]
	global_load_dwordx4 v[6:9], v[14:15], off offset:1312
	ds_read_b128 v[2:5], v148 offset:22176
	ds_write_b128 v148, v[10:13] offset:10080
	;; [unrolled: 8-line block ×3, first 2 shown]
	s_waitcnt vmcnt(0) lgkmcnt(1)
	v_mul_f64 v[0:1], v[4:5], v[8:9]
	v_fma_f64 v[0:1], v[2:3], v[6:7], -v[0:1]
	v_mul_f64 v[2:3], v[2:3], v[8:9]
	v_fmac_f64_e32 v[2:3], v[4:5], v[6:7]
	global_load_dwordx4 v[4:7], v[14:15], off offset:2320
	ds_write_b128 v148, v[0:3] offset:11088
	ds_read_b128 v[0:3], v148 offset:23184
	s_waitcnt vmcnt(0) lgkmcnt(0)
	v_mul_f64 v[8:9], v[2:3], v[6:7]
	v_mul_f64 v[10:11], v[0:1], v[6:7]
	v_fma_f64 v[8:9], v[0:1], v[4:5], -v[8:9]
	v_fmac_f64_e32 v[10:11], v[2:3], v[4:5]
	ds_write_b128 v148, v[8:11] offset:23184
	s_waitcnt lgkmcnt(0)
	; wave barrier
	s_waitcnt lgkmcnt(0)
	ds_read_b128 v[4:7], v148
	ds_read_b128 v[8:11], v148 offset:12096
	ds_read_b128 v[236:239], v148 offset:1008
	;; [unrolled: 1-line block ×23, first 2 shown]
	s_waitcnt lgkmcnt(14)
	v_add_f64 v[244:245], v[236:237], -v[244:245]
	v_fma_f64 v[248:249], v[236:237], 2.0, -v[244:245]
	v_add_f64 v[236:237], v[228:229], -v[240:241]
	v_fma_f64 v[240:241], v[228:229], 2.0, -v[236:237]
	;; [unrolled: 2-line block ×4, first 2 shown]
	s_waitcnt lgkmcnt(12)
	v_add_f64 v[208:209], v[200:201], -v[212:213]
	v_fma_f64 v[212:213], v[200:201], 2.0, -v[208:209]
	s_waitcnt lgkmcnt(10)
	v_add_f64 v[200:201], v[192:193], -v[204:205]
	v_fma_f64 v[204:205], v[192:193], 2.0, -v[200:201]
	s_waitcnt lgkmcnt(8)
	v_add_f64 v[192:193], v[184:185], -v[196:197]
	v_add_f64 v[252:253], v[4:5], -v[8:9]
	;; [unrolled: 1-line block ×3, first 2 shown]
	v_fma_f64 v[196:197], v[184:185], 2.0, -v[192:193]
	s_waitcnt lgkmcnt(6)
	v_add_f64 v[184:185], v[176:177], -v[188:189]
	v_fma_f64 v[4:5], v[4:5], 2.0, -v[252:253]
	v_fma_f64 v[6:7], v[6:7], 2.0, -v[254:255]
	;; [unrolled: 1-line block ×3, first 2 shown]
	s_waitcnt lgkmcnt(4)
	v_add_f64 v[176:177], v[168:169], -v[180:181]
	v_fma_f64 v[180:181], v[168:169], 2.0, -v[176:177]
	s_waitcnt lgkmcnt(2)
	v_add_f64 v[168:169], v[160:161], -v[172:173]
	s_waitcnt lgkmcnt(0)
	; wave barrier
	s_waitcnt lgkmcnt(0)
	ds_write_b128 v149, v[4:7]
	ds_write_b128 v149, v[252:255] offset:16
	v_fma_f64 v[172:173], v[160:161], 2.0, -v[168:169]
	v_add_f64 v[160:161], v[164:165], -v[0:1]
	buffer_load_dword v0, off, s[36:39], 0 offset:556 ; 4-byte Folded Reload
	v_add_f64 v[246:247], v[238:239], -v[246:247]
	v_fma_f64 v[250:251], v[238:239], 2.0, -v[246:247]
	s_waitcnt vmcnt(0)
	ds_write_b128 v0, v[248:251]
	ds_write_b128 v0, v[244:247] offset:16
	buffer_load_dword v0, off, s[36:39], 0 offset:552 ; 4-byte Folded Reload
	v_add_f64 v[238:239], v[230:231], -v[242:243]
	v_fma_f64 v[242:243], v[230:231], 2.0, -v[238:239]
	s_waitcnt vmcnt(0)
	ds_write_b128 v0, v[240:243]
	ds_write_b128 v0, v[236:239] offset:16
	;; [unrolled: 6-line block ×10, first 2 shown]
	buffer_load_dword v0, off, s[36:39], 0 offset:280 ; 4-byte Folded Reload
	v_add_f64 v[162:163], v[166:167], -v[2:3]
	v_fma_f64 v[164:165], v[164:165], 2.0, -v[160:161]
	v_fma_f64 v[166:167], v[166:167], 2.0, -v[162:163]
	s_waitcnt vmcnt(0)
	ds_write_b128 v0, v[164:167]
	ds_write_b128 v0, v[160:163] offset:16
	s_waitcnt lgkmcnt(0)
	; wave barrier
	s_waitcnt lgkmcnt(0)
	ds_read_b128 v[172:175], v148
	ds_read_b128 v[8:11], v148 offset:12096
	ds_read_b128 v[168:171], v148 offset:1008
	;; [unrolled: 1-line block ×23, first 2 shown]
	s_waitcnt lgkmcnt(14)
	v_mul_f64 v[16:17], v[218:219], v[10:11]
	v_fmac_f64_e32 v[16:17], v[216:217], v[8:9]
	v_mul_f64 v[8:9], v[218:219], v[8:9]
	v_fma_f64 v[18:19], v[216:217], v[10:11], -v[8:9]
	v_mul_f64 v[8:9], v[52:53], v[14:15]
	v_fmac_f64_e32 v[8:9], v[40:41], v[12:13]
	v_add_f64 v[240:241], v[168:169], -v[8:9]
	s_waitcnt lgkmcnt(0)
	; wave barrier
	s_waitcnt lgkmcnt(0)
	buffer_load_dword v8, off, s[36:39], 0 offset:248 ; 4-byte Folded Reload
	v_mul_f64 v[10:11], v[52:53], v[12:13]
	v_fma_f64 v[12:13], v[40:41], v[14:15], -v[10:11]
	v_mul_f64 v[10:11], v[218:219], v[22:23]
	v_fmac_f64_e32 v[10:11], v[216:217], v[20:21]
	v_mul_f64 v[14:15], v[218:219], v[20:21]
	v_mul_f64 v[40:41], v[44:45], v[26:27]
	;; [unrolled: 1-line block ×3, first 2 shown]
	v_fmac_f64_e32 v[40:41], v[42:43], v[24:25]
	v_fma_f64 v[24:25], v[42:43], v[26:27], -v[20:21]
	v_accvgpr_read_b32 v42, a68
	v_mul_f64 v[26:27], v[218:219], v[30:31]
	v_mul_f64 v[20:21], v[218:219], v[28:29]
	v_accvgpr_read_b32 v44, a70
	v_accvgpr_read_b32 v45, a71
	v_fmac_f64_e32 v[26:27], v[216:217], v[28:29]
	v_fma_f64 v[28:29], v[216:217], v[30:31], -v[20:21]
	v_accvgpr_read_b32 v43, a69
	v_mul_f64 v[30:31], v[44:45], v[34:35]
	v_mul_f64 v[20:21], v[44:45], v[32:33]
	v_fmac_f64_e32 v[30:31], v[42:43], v[32:33]
	v_fma_f64 v[32:33], v[42:43], v[34:35], -v[20:21]
	v_accvgpr_read_b32 v42, a60
	v_mul_f64 v[34:35], v[218:219], v[38:39]
	v_mul_f64 v[20:21], v[218:219], v[36:37]
	v_accvgpr_read_b32 v44, a62
	v_accvgpr_read_b32 v45, a63
	v_fmac_f64_e32 v[34:35], v[216:217], v[36:37]
	v_fma_f64 v[36:37], v[216:217], v[38:39], -v[20:21]
	v_accvgpr_read_b32 v43, a61
	v_mul_f64 v[38:39], v[44:45], v[222:223]
	v_mul_f64 v[20:21], v[44:45], v[220:221]
	v_fma_f64 v[14:15], v[216:217], v[22:23], -v[14:15]
	v_fmac_f64_e32 v[38:39], v[42:43], v[220:221]
	v_fma_f64 v[42:43], v[42:43], v[222:223], -v[20:21]
	v_mul_f64 v[44:45], v[218:219], v[6:7]
	v_accvgpr_read_b32 v20, a56
	v_fmac_f64_e32 v[44:45], v[216:217], v[4:5]
	v_mul_f64 v[4:5], v[218:219], v[4:5]
	v_accvgpr_read_b32 v22, a58
	v_accvgpr_read_b32 v23, a59
	v_fma_f64 v[4:5], v[216:217], v[6:7], -v[4:5]
	v_accvgpr_read_b32 v21, a57
	v_mul_f64 v[6:7], v[22:23], v[2:3]
	v_fmac_f64_e32 v[6:7], v[20:21], v[0:1]
	v_mul_f64 v[0:1], v[22:23], v[0:1]
	v_fma_f64 v[0:1], v[20:21], v[2:3], -v[0:1]
	v_mul_f64 v[20:21], v[218:219], v[212:213]
	v_fma_f64 v[46:47], v[216:217], v[214:215], -v[20:21]
	v_accvgpr_read_b32 v20, a156
	v_accvgpr_read_b32 v21, a157
	v_mul_f64 v[48:49], v[20:21], v[210:211]
	v_mul_f64 v[20:21], v[20:21], v[208:209]
	v_add_f64 v[248:249], v[172:173], -v[16:17]
	v_add_f64 v[250:251], v[174:175], -v[18:19]
	v_fmac_f64_e32 v[48:49], v[50:51], v[208:209]
	v_fma_f64 v[50:51], v[50:51], v[210:211], -v[20:21]
	v_fma_f64 v[20:21], v[172:173], 2.0, -v[248:249]
	v_fma_f64 v[22:23], v[174:175], 2.0, -v[250:251]
	s_waitcnt vmcnt(0)
	ds_write_b128 v8, v[20:23]
	ds_write_b128 v8, v[248:251] offset:32
	buffer_load_dword v8, off, s[36:39], 0 offset:252 ; 4-byte Folded Reload
	v_add_f64 v[242:243], v[170:171], -v[12:13]
	v_fma_f64 v[244:245], v[168:169], 2.0, -v[240:241]
	v_fma_f64 v[246:247], v[170:171], 2.0, -v[242:243]
	s_waitcnt vmcnt(0)
	ds_write_b128 v8, v[244:247]
	ds_write_b128 v8, v[240:243] offset:32
	buffer_load_dword v8, off, s[36:39], 0 offset:264 ; 4-byte Folded Reload
	v_add_f64 v[232:233], v[164:165], -v[10:11]
	v_add_f64 v[234:235], v[166:167], -v[14:15]
	v_fma_f64 v[236:237], v[164:165], 2.0, -v[232:233]
	v_fma_f64 v[238:239], v[166:167], 2.0, -v[234:235]
	s_waitcnt vmcnt(0)
	ds_write_b128 v8, v[236:239]
	ds_write_b128 v8, v[232:235] offset:32
	buffer_load_dword v8, off, s[36:39], 0 offset:268 ; 4-byte Folded Reload
	v_add_f64 v[224:225], v[160:161], -v[40:41]
	v_add_f64 v[226:227], v[162:163], -v[24:25]
	v_fma_f64 v[228:229], v[160:161], 2.0, -v[224:225]
	v_fma_f64 v[230:231], v[162:163], 2.0, -v[226:227]
	s_waitcnt vmcnt(0)
	ds_write_b128 v8, v[228:231]
	ds_write_b128 v8, v[224:227] offset:32
	buffer_load_dword v8, off, s[36:39], 0 offset:260 ; 4-byte Folded Reload
	v_mul_f64 v[2:3], v[218:219], v[214:215]
	v_fmac_f64_e32 v[2:3], v[216:217], v[212:213]
	v_add_f64 v[216:217], v[204:205], -v[26:27]
	v_add_f64 v[218:219], v[206:207], -v[28:29]
	v_fma_f64 v[220:221], v[204:205], 2.0, -v[216:217]
	v_fma_f64 v[222:223], v[206:207], 2.0, -v[218:219]
	s_waitcnt vmcnt(0)
	ds_write_b128 v8, v[220:223]
	ds_write_b128 v8, v[216:219] offset:32
	buffer_load_dword v8, off, s[36:39], 0 offset:256 ; 4-byte Folded Reload
	v_add_f64 v[208:209], v[200:201], -v[30:31]
	v_add_f64 v[210:211], v[202:203], -v[32:33]
	v_fma_f64 v[212:213], v[200:201], 2.0, -v[208:209]
	v_fma_f64 v[214:215], v[202:203], 2.0, -v[210:211]
	s_waitcnt vmcnt(0)
	ds_write_b128 v8, v[212:215]
	ds_write_b128 v8, v[208:211] offset:32
	buffer_load_dword v8, off, s[36:39], 0 offset:244 ; 4-byte Folded Reload
	;; [unrolled: 8-line block ×7, first 2 shown]
	v_add_f64 v[0:1], v[176:177], -v[48:49]
	v_add_f64 v[2:3], v[178:179], -v[50:51]
	v_fma_f64 v[4:5], v[176:177], 2.0, -v[0:1]
	v_fma_f64 v[6:7], v[178:179], 2.0, -v[2:3]
	s_waitcnt vmcnt(0)
	ds_write_b128 v8, v[4:7]
	ds_write_b128 v8, v[0:3] offset:32
	s_waitcnt lgkmcnt(0)
	; wave barrier
	s_waitcnt lgkmcnt(0)
	ds_read_b128 v[164:167], v148
	ds_read_b128 v[8:11], v148 offset:12096
	ds_read_b128 v[160:163], v148 offset:1008
	;; [unrolled: 1-line block ×23, first 2 shown]
	s_waitcnt lgkmcnt(14)
	v_mul_f64 v[32:33], v[118:119], v[10:11]
	v_accvgpr_read_b32 v207, a127
	v_fmac_f64_e32 v[32:33], v[116:117], v[8:9]
	v_mul_f64 v[8:9], v[118:119], v[8:9]
	v_accvgpr_read_b32 v206, a126
	v_accvgpr_read_b32 v24, a142
	v_fma_f64 v[34:35], v[116:117], v[10:11], -v[8:9]
	v_mul_f64 v[8:9], v[206:207], v[22:23]
	v_accvgpr_read_b32 v25, a143
	v_fmac_f64_e32 v[8:9], v[24:25], v[20:21]
	v_add_f64 v[232:233], v[160:161], -v[8:9]
	s_waitcnt lgkmcnt(0)
	; wave barrier
	s_waitcnt lgkmcnt(0)
	buffer_load_dword v8, off, s[36:39], 0 offset:84 ; 4-byte Folded Reload
	v_add_f64 v[240:241], v[164:165], -v[32:33]
	v_add_f64 v[242:243], v[166:167], -v[34:35]
	v_fma_f64 v[32:33], v[164:165], 2.0, -v[240:241]
	v_fma_f64 v[34:35], v[166:167], 2.0, -v[242:243]
	s_waitcnt vmcnt(0)
	ds_write_b128 v8, v[32:35]
	ds_write_b128 v8, v[240:243] offset:64
	buffer_load_dword v8, off, s[36:39], 0 offset:104 ; 4-byte Folded Reload
	v_mul_f64 v[10:11], v[206:207], v[20:21]
	v_fma_f64 v[24:25], v[24:25], v[22:23], -v[10:11]
	v_add_f64 v[234:235], v[162:163], -v[24:25]
	v_fma_f64 v[236:237], v[160:161], 2.0, -v[232:233]
	v_fma_f64 v[238:239], v[162:163], 2.0, -v[234:235]
	s_waitcnt vmcnt(0)
	ds_write_b128 v8, v[236:239]
	ds_write_b128 v8, v[232:235] offset:64
	buffer_load_dword v8, off, s[36:39], 0 offset:80 ; 4-byte Folded Reload
	v_accvgpr_read_b32 v209, a131
	v_accvgpr_read_b32 v208, a130
	;; [unrolled: 1-line block ×3, first 2 shown]
	v_mul_f64 v[10:11], v[208:209], v[28:29]
	v_accvgpr_read_b32 v23, a237
	v_mul_f64 v[20:21], v[208:209], v[26:27]
	v_fmac_f64_e32 v[10:11], v[22:23], v[26:27]
	v_fma_f64 v[26:27], v[22:23], v[28:29], -v[20:21]
	v_add_f64 v[224:225], v[16:17], -v[10:11]
	v_add_f64 v[226:227], v[18:19], -v[26:27]
	v_fma_f64 v[228:229], v[16:17], 2.0, -v[224:225]
	v_fma_f64 v[230:231], v[18:19], 2.0, -v[226:227]
	s_waitcnt vmcnt(0)
	ds_write_b128 v8, v[228:231]
	ds_write_b128 v8, v[224:227] offset:64
	buffer_load_dword v8, off, s[36:39], 0 offset:52 ; 4-byte Folded Reload
	v_accvgpr_read_b32 v211, a141
	v_accvgpr_read_b32 v210, a140
	;; [unrolled: 1-line block ×3, first 2 shown]
	v_mul_f64 v[20:21], v[210:211], v[38:39]
	v_accvgpr_read_b32 v29, a243
	v_mul_f64 v[22:23], v[210:211], v[36:37]
	v_fmac_f64_e32 v[20:21], v[28:29], v[36:37]
	v_fma_f64 v[28:29], v[28:29], v[38:39], -v[22:23]
	v_add_f64 v[216:217], v[12:13], -v[20:21]
	v_add_f64 v[218:219], v[14:15], -v[28:29]
	v_fma_f64 v[220:221], v[12:13], 2.0, -v[216:217]
	v_fma_f64 v[222:223], v[14:15], 2.0, -v[218:219]
	s_waitcnt vmcnt(0)
	ds_write_b128 v8, v[220:223]
	ds_write_b128 v8, v[216:219] offset:64
	buffer_load_dword v8, off, s[36:39], 0 offset:48 ; 4-byte Folded Reload
	v_mul_f64 v[22:23], v[118:119], v[42:43]
	v_mul_f64 v[30:31], v[118:119], v[40:41]
	v_fmac_f64_e32 v[22:23], v[116:117], v[40:41]
	v_fma_f64 v[30:31], v[116:117], v[42:43], -v[30:31]
	v_accvgpr_read_b32 v40, a216
	v_accvgpr_read_b32 v42, a218
	v_accvgpr_read_b32 v43, a219
	v_accvgpr_read_b32 v41, a217
	v_mul_f64 v[36:37], v[42:43], v[46:47]
	v_mul_f64 v[38:39], v[42:43], v[44:45]
	v_fmac_f64_e32 v[36:37], v[40:41], v[44:45]
	v_fma_f64 v[38:39], v[40:41], v[46:47], -v[38:39]
	v_accvgpr_read_b32 v44, a220
	v_accvgpr_read_b32 v46, a222
	v_accvgpr_read_b32 v47, a223
	v_accvgpr_read_b32 v45, a221
	;; [unrolled: 8-line block ×3, first 2 shown]
	v_mul_f64 v[44:45], v[50:51], v[54:55]
	v_mul_f64 v[46:47], v[50:51], v[52:53]
	v_fmac_f64_e32 v[44:45], v[48:49], v[52:53]
	v_fma_f64 v[46:47], v[48:49], v[54:55], -v[46:47]
	v_mul_f64 v[48:49], v[118:119], v[58:59]
	v_mul_f64 v[50:51], v[118:119], v[56:57]
	v_fmac_f64_e32 v[48:49], v[116:117], v[56:57]
	v_fma_f64 v[50:51], v[116:117], v[58:59], -v[50:51]
	v_accvgpr_read_b32 v116, a186
	v_accvgpr_read_b32 v117, a187
	;; [unrolled: 1-line block ×4, first 2 shown]
	v_mul_f64 v[244:245], v[116:117], v[194:195]
	v_mul_f64 v[116:117], v[116:117], v[192:193]
	v_fmac_f64_e32 v[244:245], v[208:209], v[192:193]
	v_fma_f64 v[246:247], v[208:209], v[194:195], -v[116:117]
	v_add_f64 v[208:209], v[4:5], -v[22:23]
	v_add_f64 v[210:211], v[6:7], -v[30:31]
	v_fma_f64 v[212:213], v[4:5], 2.0, -v[208:209]
	v_fma_f64 v[214:215], v[6:7], 2.0, -v[210:211]
	s_waitcnt vmcnt(0)
	ds_write_b128 v8, v[212:215]
	ds_write_b128 v8, v[208:211] offset:64
	buffer_load_dword v8, off, s[36:39], 0 offset:44 ; 4-byte Folded Reload
	v_accvgpr_read_b32 v54, a192
	v_accvgpr_read_b32 v55, a193
	;; [unrolled: 1-line block ×5, first 2 shown]
	v_mul_f64 v[52:53], v[54:55], v[202:203]
	v_mul_f64 v[54:55], v[54:55], v[200:201]
	v_accvgpr_read_b32 v59, a211
	v_accvgpr_read_b32 v207, a129
	;; [unrolled: 1-line block ×3, first 2 shown]
	v_fmac_f64_e32 v[52:53], v[204:205], v[200:201]
	v_fma_f64 v[54:55], v[204:205], v[202:203], -v[54:55]
	v_mul_f64 v[56:57], v[58:59], v[198:199]
	v_mul_f64 v[58:59], v[58:59], v[196:197]
	v_add_f64 v[200:201], v[0:1], -v[36:37]
	v_add_f64 v[202:203], v[2:3], -v[38:39]
	v_fmac_f64_e32 v[56:57], v[206:207], v[196:197]
	v_fma_f64 v[58:59], v[206:207], v[198:199], -v[58:59]
	v_fma_f64 v[204:205], v[0:1], 2.0, -v[200:201]
	v_fma_f64 v[206:207], v[2:3], 2.0, -v[202:203]
	s_waitcnt vmcnt(0)
	ds_write_b128 v8, v[204:207]
	ds_write_b128 v8, v[200:203] offset:64
	buffer_load_dword v8, off, s[36:39], 0 offset:40 ; 4-byte Folded Reload
	v_add_f64 v[192:193], v[172:173], -v[40:41]
	v_add_f64 v[194:195], v[174:175], -v[42:43]
	v_fma_f64 v[196:197], v[172:173], 2.0, -v[192:193]
	v_fma_f64 v[198:199], v[174:175], 2.0, -v[194:195]
	s_waitcnt vmcnt(0)
	ds_write_b128 v8, v[196:199]
	ds_write_b128 v8, v[192:195] offset:64
	buffer_load_dword v8, off, s[36:39], 0 offset:32 ; 4-byte Folded Reload
	v_add_f64 v[172:173], v[176:177], -v[44:45]
	v_add_f64 v[174:175], v[178:179], -v[46:47]
	;; [unrolled: 8-line block ×6, first 2 shown]
	v_accvgpr_read_b32 v38, a106
	v_fma_f64 v[12:13], v[180:181], 2.0, -v[0:1]
	v_fma_f64 v[14:15], v[182:183], 2.0, -v[2:3]
	v_accvgpr_read_b32 v40, a108
	v_accvgpr_read_b32 v41, a109
	s_waitcnt vmcnt(0)
	ds_write_b128 v4, v[12:15]
	ds_write_b128 v4, v[0:3] offset:64
	s_waitcnt lgkmcnt(0)
	; wave barrier
	s_waitcnt lgkmcnt(0)
	ds_read_b128 v[116:119], v148
	ds_read_b128 v[8:11], v148 offset:8064
	ds_read_b128 v[208:211], v148 offset:16128
	ds_read_b128 v[168:171], v148 offset:1008
	ds_read_b128 v[20:23], v148 offset:9072
	ds_read_b128 v[24:27], v148 offset:17136
	ds_read_b128 v[164:167], v148 offset:2016
	ds_read_b128 v[28:31], v148 offset:10080
	ds_read_b128 v[32:35], v148 offset:18144
	ds_read_b128 v[160:163], v148 offset:3024
	ds_read_b128 v[212:215], v148 offset:11088
	ds_read_b128 v[204:207], v148 offset:19152
	ds_read_b128 v[16:19], v148 offset:4032
	ds_read_b128 v[200:203], v148 offset:12096
	ds_read_b128 v[196:199], v148 offset:20160
	ds_read_b128 v[12:15], v148 offset:5040
	ds_read_b128 v[192:195], v148 offset:13104
	ds_read_b128 v[188:191], v148 offset:21168
	ds_read_b128 v[4:7], v148 offset:6048
	ds_read_b128 v[184:187], v148 offset:14112
	ds_read_b128 v[180:183], v148 offset:22176
	ds_read_b128 v[0:3], v148 offset:7056
	ds_read_b128 v[176:179], v148 offset:15120
	ds_read_b128 v[172:175], v148 offset:23184
	v_accvgpr_read_b32 v39, a107
	s_waitcnt lgkmcnt(14)
	v_mul_f64 v[36:37], v[40:41], v[10:11]
	v_fmac_f64_e32 v[36:37], v[38:39], v[8:9]
	v_mul_f64 v[8:9], v[40:41], v[8:9]
	v_accvgpr_read_b32 v40, a102
	v_accvgpr_read_b32 v42, a104
	;; [unrolled: 1-line block ×3, first 2 shown]
	v_fma_f64 v[8:9], v[38:39], v[10:11], -v[8:9]
	v_mul_f64 v[10:11], v[42:43], v[210:211]
	v_mul_f64 v[38:39], v[42:43], v[208:209]
	v_accvgpr_read_b32 v42, a114
	v_accvgpr_read_b32 v41, a103
	;; [unrolled: 1-line block ×4, first 2 shown]
	v_fmac_f64_e32 v[10:11], v[40:41], v[208:209]
	v_fma_f64 v[38:39], v[40:41], v[210:211], -v[38:39]
	v_accvgpr_read_b32 v43, a115
	v_mul_f64 v[40:41], v[44:45], v[22:23]
	v_fmac_f64_e32 v[40:41], v[42:43], v[20:21]
	v_mul_f64 v[20:21], v[44:45], v[20:21]
	v_fma_f64 v[20:21], v[42:43], v[22:23], -v[20:21]
	v_accvgpr_read_b32 v42, a110
	v_accvgpr_read_b32 v44, a112
	v_accvgpr_read_b32 v45, a113
	v_accvgpr_read_b32 v43, a111
	v_mul_f64 v[22:23], v[44:45], v[26:27]
	v_fmac_f64_e32 v[22:23], v[42:43], v[24:25]
	v_mul_f64 v[24:25], v[44:45], v[24:25]
	v_fma_f64 v[24:25], v[42:43], v[26:27], -v[24:25]
	v_accvgpr_read_b32 v42, a132
	v_accvgpr_read_b32 v44, a134
	v_accvgpr_read_b32 v45, a135
	;; [unrolled: 8-line block ×3, first 2 shown]
	v_accvgpr_read_b32 v43, a145
	v_mul_f64 v[30:31], v[44:45], v[34:35]
	v_fmac_f64_e32 v[30:31], v[42:43], v[32:33]
	v_mul_f64 v[32:33], v[44:45], v[32:33]
	v_accvgpr_read_b32 v44, a152
	v_accvgpr_read_b32 v46, a154
	;; [unrolled: 1-line block ×4, first 2 shown]
	v_fma_f64 v[32:33], v[42:43], v[34:35], -v[32:33]
	v_accvgpr_read_b32 v45, a153
	s_waitcnt lgkmcnt(13)
	v_mul_f64 v[34:35], v[46:47], v[214:215]
	v_mul_f64 v[42:43], v[46:47], v[212:213]
	v_accvgpr_read_b32 v50, a160
	v_accvgpr_read_b32 v51, a161
	;; [unrolled: 1-line block ×3, first 2 shown]
	v_fmac_f64_e32 v[34:35], v[44:45], v[212:213]
	v_fma_f64 v[42:43], v[44:45], v[214:215], -v[42:43]
	v_accvgpr_read_b32 v49, a159
	s_waitcnt lgkmcnt(12)
	v_mul_f64 v[44:45], v[50:51], v[206:207]
	v_mul_f64 v[46:47], v[50:51], v[204:205]
	v_accvgpr_read_b32 v54, a168
	v_accvgpr_read_b32 v55, a169
	;; [unrolled: 1-line block ×3, first 2 shown]
	v_fmac_f64_e32 v[44:45], v[48:49], v[204:205]
	v_fma_f64 v[46:47], v[48:49], v[206:207], -v[46:47]
	v_accvgpr_read_b32 v53, a167
	s_waitcnt lgkmcnt(10)
	v_mul_f64 v[48:49], v[54:55], v[202:203]
	v_mul_f64 v[50:51], v[54:55], v[200:201]
	v_accvgpr_read_b32 v58, a176
	v_accvgpr_read_b32 v59, a177
	v_fmac_f64_e32 v[48:49], v[52:53], v[200:201]
	v_fma_f64 v[50:51], v[52:53], v[202:203], -v[50:51]
	v_accvgpr_read_b32 v57, a175
	s_waitcnt lgkmcnt(9)
	v_mul_f64 v[52:53], v[58:59], v[198:199]
	v_mul_f64 v[54:55], v[58:59], v[196:197]
	v_fmac_f64_e32 v[52:53], v[56:57], v[196:197]
	v_fma_f64 v[54:55], v[56:57], v[198:199], -v[54:55]
	v_accvgpr_read_b32 v199, a181
	v_accvgpr_read_b32 v198, a180
	;; [unrolled: 1-line block ×4, first 2 shown]
	s_waitcnt lgkmcnt(7)
	v_mul_f64 v[56:57], v[198:199], v[194:195]
	v_mul_f64 v[58:59], v[198:199], v[192:193]
	v_fmac_f64_e32 v[56:57], v[196:197], v[192:193]
	v_fma_f64 v[58:59], v[196:197], v[194:195], -v[58:59]
	v_accvgpr_read_b32 v195, a191
	v_accvgpr_read_b32 v194, a190
	v_accvgpr_read_b32 v193, a189
	v_accvgpr_read_b32 v192, a188
	s_waitcnt lgkmcnt(6)
	v_mul_f64 v[236:237], v[194:195], v[190:191]
	v_fmac_f64_e32 v[236:237], v[192:193], v[188:189]
	v_mul_f64 v[188:189], v[194:195], v[188:189]
	v_fma_f64 v[190:191], v[192:193], v[190:191], -v[188:189]
	v_accvgpr_read_b32 v192, a194
	v_accvgpr_read_b32 v194, a196
	v_accvgpr_read_b32 v195, a197
	v_accvgpr_read_b32 v193, a195
	s_waitcnt lgkmcnt(4)
	v_mul_f64 v[238:239], v[194:195], v[186:187]
	v_fmac_f64_e32 v[238:239], v[192:193], v[184:185]
	v_mul_f64 v[184:185], v[194:195], v[184:185]
	;; [unrolled: 9-line block ×5, first 2 shown]
	v_fma_f64 v[174:175], v[176:177], v[174:175], -v[172:173]
	v_add_f64 v[172:173], v[116:117], v[36:37]
	v_add_f64 v[228:229], v[172:173], v[10:11]
	;; [unrolled: 1-line block ×3, first 2 shown]
	v_fmac_f64_e32 v[116:117], -0.5, v[172:173]
	v_add_f64 v[172:173], v[8:9], -v[38:39]
	v_fma_f64 v[224:225], s[4:5], v[172:173], v[116:117]
	v_fmac_f64_e32 v[116:117], s[6:7], v[172:173]
	v_add_f64 v[172:173], v[118:119], v[8:9]
	v_add_f64 v[8:9], v[8:9], v[38:39]
	v_fmac_f64_e32 v[118:119], -0.5, v[8:9]
	v_add_f64 v[8:9], v[36:37], -v[10:11]
	v_fma_f64 v[226:227], s[6:7], v[8:9], v[118:119]
	v_fmac_f64_e32 v[118:119], s[4:5], v[8:9]
	v_add_f64 v[8:9], v[168:169], v[40:41]
	v_add_f64 v[220:221], v[8:9], v[22:23]
	v_add_f64 v[8:9], v[40:41], v[22:23]
	v_fmac_f64_e32 v[168:169], -0.5, v[8:9]
	v_add_f64 v[8:9], v[20:21], -v[24:25]
	v_fma_f64 v[232:233], s[4:5], v[8:9], v[168:169]
	v_fmac_f64_e32 v[168:169], s[6:7], v[8:9]
	v_add_f64 v[8:9], v[170:171], v[20:21]
	;; [unrolled: 7-line block ×13, first 2 shown]
	v_add_f64 v[176:177], v[8:9], v[248:249]
	v_add_f64 v[8:9], v[244:245], v[248:249]
	v_fmac_f64_e32 v[0:1], -0.5, v[8:9]
	v_add_f64 v[8:9], v[246:247], -v[174:175]
	v_add_f64 v[230:231], v[172:173], v[38:39]
	v_fma_f64 v[172:173], s[4:5], v[8:9], v[0:1]
	v_fmac_f64_e32 v[0:1], s[6:7], v[8:9]
	v_add_f64 v[8:9], v[2:3], v[246:247]
	v_add_f64 v[178:179], v[8:9], v[174:175]
	;; [unrolled: 1-line block ×3, first 2 shown]
	v_fmac_f64_e32 v[2:3], -0.5, v[8:9]
	v_add_f64 v[8:9], v[244:245], -v[248:249]
	v_fma_f64 v[174:175], s[6:7], v[8:9], v[2:3]
	v_fmac_f64_e32 v[2:3], s[4:5], v[8:9]
	s_waitcnt lgkmcnt(0)
	; wave barrier
	buffer_load_dword v8, off, s[36:39], 0 offset:60 ; 4-byte Folded Reload
	s_waitcnt vmcnt(0)
	ds_write_b128 v8, v[228:231]
	ds_write_b128 v8, v[224:227] offset:128
	ds_write_b128 v8, v[116:119] offset:256
	buffer_load_dword v8, off, s[36:39], 0  ; 4-byte Folded Reload
	s_waitcnt vmcnt(0)
	ds_write_b128 v8, v[220:223]
	ds_write_b128 v8, v[232:235] offset:128
	ds_write_b128 v8, v[168:171] offset:256
	buffer_load_dword v8, off, s[36:39], 0 offset:4 ; 4-byte Folded Reload
	s_waitcnt vmcnt(0)
	ds_write_b128 v8, v[216:219]
	ds_write_b128 v8, v[212:215] offset:128
	ds_write_b128 v8, v[164:167] offset:256
	buffer_load_dword v8, off, s[36:39], 0 offset:8 ; 4-byte Folded Reload
	;; [unrolled: 5-line block ×6, first 2 shown]
	s_waitcnt vmcnt(0)
	ds_write_b128 v4, v[176:179]
	ds_write_b128 v4, v[172:175] offset:128
	ds_write_b128 v4, v[0:3] offset:256
	s_waitcnt lgkmcnt(0)
	; wave barrier
	s_waitcnt lgkmcnt(0)
	ds_read_b128 v[0:3], v148
	ds_read_b128 v[8:11], v148 offset:8064
	ds_read_b128 v[20:23], v148 offset:16128
	;; [unrolled: 1-line block ×23, first 2 shown]
	s_waitcnt lgkmcnt(0)
	; wave barrier
	s_waitcnt lgkmcnt(0)
	buffer_load_dword v149, off, s[36:39], 0 offset:272 ; 4-byte Folded Reload
	v_accvgpr_read_b32 v197, a165
	v_accvgpr_read_b32 v196, a164
	v_accvgpr_read_b32 v195, a163
	v_accvgpr_read_b32 v194, a162
	v_mul_f64 v[192:193], v[196:197], v[10:11]
	v_accvgpr_read_b32 v201, a173
	v_fmac_f64_e32 v[192:193], v[194:195], v[8:9]
	v_mul_f64 v[8:9], v[196:197], v[8:9]
	v_accvgpr_read_b32 v200, a172
	v_fma_f64 v[194:195], v[194:195], v[10:11], -v[8:9]
	v_mul_f64 v[196:197], v[200:201], v[22:23]
	v_mul_f64 v[8:9], v[200:201], v[20:21]
	v_accvgpr_read_b32 v203, a185
	v_accvgpr_read_b32 v199, a171
	;; [unrolled: 1-line block ×4, first 2 shown]
	v_fmac_f64_e32 v[196:197], v[198:199], v[20:21]
	v_fma_f64 v[22:23], v[198:199], v[22:23], -v[8:9]
	v_accvgpr_read_b32 v201, a183
	v_accvgpr_read_b32 v200, a182
	v_mul_f64 v[198:199], v[202:203], v[26:27]
	v_mul_f64 v[8:9], v[202:203], v[24:25]
	v_fmac_f64_e32 v[198:199], v[200:201], v[24:25]
	v_fma_f64 v[200:201], v[200:201], v[26:27], -v[8:9]
	v_accvgpr_read_b32 v24, a198
	v_accvgpr_read_b32 v26, a200
	v_accvgpr_read_b32 v27, a201
	v_accvgpr_read_b32 v25, a199
	v_mul_f64 v[202:203], v[26:27], v[30:31]
	v_mul_f64 v[8:9], v[26:27], v[28:29]
	v_fmac_f64_e32 v[202:203], v[24:25], v[28:29]
	v_fma_f64 v[30:31], v[24:25], v[30:31], -v[8:9]
	v_accvgpr_read_b32 v24, a202
	v_accvgpr_read_b32 v26, a204
	;; [unrolled: 8-line block ×13, first 2 shown]
	v_accvgpr_read_b32 v27, a67
	v_accvgpr_read_b32 v25, a65
	v_mul_f64 v[8:9], v[26:27], v[188:189]
	v_add_f64 v[10:11], v[192:193], v[196:197]
	v_mul_f64 v[238:239], v[26:27], v[190:191]
	v_fma_f64 v[190:191], v[24:25], v[190:191], -v[8:9]
	v_add_f64 v[8:9], v[0:1], v[192:193]
	v_fmac_f64_e32 v[0:1], -0.5, v[10:11]
	v_add_f64 v[10:11], v[194:195], -v[22:23]
	v_fma_f64 v[20:21], s[4:5], v[10:11], v[0:1]
	v_fmac_f64_e32 v[0:1], s[6:7], v[10:11]
	v_add_f64 v[10:11], v[2:3], v[194:195]
	v_add_f64 v[10:11], v[10:11], v[22:23]
	;; [unrolled: 1-line block ×3, first 2 shown]
	v_fmac_f64_e32 v[238:239], v[24:25], v[188:189]
	v_add_f64 v[8:9], v[8:9], v[196:197]
	v_fmac_f64_e32 v[2:3], -0.5, v[22:23]
	v_add_f64 v[24:25], v[192:193], -v[196:197]
	v_fma_f64 v[22:23], s[6:7], v[24:25], v[2:3]
	v_fmac_f64_e32 v[2:3], s[4:5], v[24:25]
	s_waitcnt vmcnt(0)
	ds_write_b128 v149, v[8:11]
	ds_write_b128 v149, v[20:23] offset:384
	ds_write_b128 v149, v[0:3] offset:768
	buffer_load_dword v0, off, s[36:39], 0 offset:276 ; 4-byte Folded Reload
	v_add_f64 v[26:27], v[198:199], v[202:203]
	v_add_f64 v[24:25], v[4:5], v[198:199]
	v_fmac_f64_e32 v[4:5], -0.5, v[26:27]
	v_add_f64 v[26:27], v[200:201], -v[30:31]
	v_fma_f64 v[28:29], s[4:5], v[26:27], v[4:5]
	v_fmac_f64_e32 v[4:5], s[6:7], v[26:27]
	v_add_f64 v[26:27], v[6:7], v[200:201]
	v_add_f64 v[26:27], v[26:27], v[30:31]
	v_add_f64 v[30:31], v[200:201], v[30:31]
	v_add_f64 v[24:25], v[24:25], v[202:203]
	v_fmac_f64_e32 v[6:7], -0.5, v[30:31]
	v_add_f64 v[32:33], v[198:199], -v[202:203]
	v_fma_f64 v[30:31], s[6:7], v[32:33], v[6:7]
	v_fmac_f64_e32 v[6:7], s[4:5], v[32:33]
	s_waitcnt vmcnt(0)
	ds_write_b128 v0, v[24:27]
	ds_write_b128 v0, v[28:31] offset:384
	ds_write_b128 v0, v[4:7] offset:768
	buffer_load_dword v0, off, s[36:39], 0 offset:292 ; 4-byte Folded Reload
	v_add_f64 v[34:35], v[204:205], v[208:209]
	v_add_f64 v[32:33], v[12:13], v[204:205]
	v_fmac_f64_e32 v[12:13], -0.5, v[34:35]
	v_add_f64 v[34:35], v[206:207], -v[38:39]
	v_fma_f64 v[36:37], s[4:5], v[34:35], v[12:13]
	v_fmac_f64_e32 v[12:13], s[6:7], v[34:35]
	v_add_f64 v[34:35], v[14:15], v[206:207]
	v_add_f64 v[34:35], v[34:35], v[38:39]
	v_add_f64 v[38:39], v[206:207], v[38:39]
	;; [unrolled: 19-line block ×7, first 2 shown]
	v_fmac_f64_e32 v[170:171], -0.5, v[190:191]
	v_add_f64 v[192:193], v[234:235], -v[238:239]
	v_accvgpr_read_b32 v197, a79
	v_add_f64 v[184:185], v[184:185], v[238:239]
	v_fma_f64 v[190:191], s[6:7], v[192:193], v[170:171]
	v_fmac_f64_e32 v[170:171], s[4:5], v[192:193]
	v_accvgpr_read_b32 v196, a78
	s_waitcnt vmcnt(0)
	ds_write_b128 v0, v[184:187]
	ds_write_b128 v0, v[188:191] offset:384
	ds_write_b128 v0, v[168:171] offset:768
	s_waitcnt lgkmcnt(0)
	; wave barrier
	s_waitcnt lgkmcnt(0)
	ds_read_b128 v[12:15], v148
	ds_read_b128 v[4:7], v148 offset:8064
	ds_read_b128 v[8:11], v148 offset:16128
	;; [unrolled: 1-line block ×23, first 2 shown]
	v_accvgpr_read_b32 v195, a77
	v_accvgpr_read_b32 v194, a76
	s_waitcnt lgkmcnt(14)
	v_mul_f64 v[192:193], v[196:197], v[6:7]
	v_fmac_f64_e32 v[192:193], v[194:195], v[4:5]
	v_mul_f64 v[4:5], v[196:197], v[4:5]
	v_fma_f64 v[4:5], v[194:195], v[6:7], -v[4:5]
	v_accvgpr_read_b32 v197, a83
	v_accvgpr_read_b32 v196, a82
	;; [unrolled: 1-line block ×4, first 2 shown]
	v_mul_f64 v[6:7], v[196:197], v[10:11]
	v_fmac_f64_e32 v[6:7], v[194:195], v[8:9]
	v_mul_f64 v[8:9], v[196:197], v[8:9]
	v_fma_f64 v[8:9], v[194:195], v[10:11], -v[8:9]
	v_accvgpr_read_b32 v197, a87
	v_accvgpr_read_b32 v196, a86
	;; [unrolled: 1-line block ×5, first 2 shown]
	v_mul_f64 v[10:11], v[196:197], v[22:23]
	v_accvgpr_read_b32 v200, a8
	v_fmac_f64_e32 v[10:11], v[194:195], v[20:21]
	v_mul_f64 v[20:21], v[196:197], v[20:21]
	v_accvgpr_read_b32 v199, a7
	v_accvgpr_read_b32 v198, a6
	v_mul_f64 v[196:197], v[200:201], v[26:27]
	v_fma_f64 v[194:195], v[194:195], v[22:23], -v[20:21]
	v_fmac_f64_e32 v[196:197], v[198:199], v[24:25]
	v_mul_f64 v[20:21], v[200:201], v[24:25]
	v_accvgpr_read_b32 v22, a88
	v_accvgpr_read_b32 v24, a90
	;; [unrolled: 1-line block ×3, first 2 shown]
	v_fma_f64 v[198:199], v[198:199], v[26:27], -v[20:21]
	v_accvgpr_read_b32 v23, a89
	v_mul_f64 v[200:201], v[24:25], v[30:31]
	v_mul_f64 v[20:21], v[24:25], v[28:29]
	v_fmac_f64_e32 v[200:201], v[22:23], v[28:29]
	v_fma_f64 v[202:203], v[22:23], v[30:31], -v[20:21]
	v_accvgpr_read_b32 v22, a36
	v_accvgpr_read_b32 v24, a38
	;; [unrolled: 1-line block ×4, first 2 shown]
	v_mul_f64 v[204:205], v[24:25], v[34:35]
	v_mul_f64 v[20:21], v[24:25], v[32:33]
	v_fmac_f64_e32 v[204:205], v[22:23], v[32:33]
	v_fma_f64 v[206:207], v[22:23], v[34:35], -v[20:21]
	v_accvgpr_read_b32 v22, a96
	v_accvgpr_read_b32 v24, a98
	v_accvgpr_read_b32 v25, a99
	v_accvgpr_read_b32 v23, a97
	s_waitcnt lgkmcnt(13)
	v_mul_f64 v[208:209], v[24:25], v[38:39]
	v_mul_f64 v[20:21], v[24:25], v[36:37]
	v_fmac_f64_e32 v[208:209], v[22:23], v[36:37]
	v_fma_f64 v[210:211], v[22:23], v[38:39], -v[20:21]
	v_accvgpr_read_b32 v22, a92
	v_accvgpr_read_b32 v24, a94
	v_accvgpr_read_b32 v25, a95
	v_accvgpr_read_b32 v23, a93
	s_waitcnt lgkmcnt(12)
	;; [unrolled: 9-line block ×4, first 2 shown]
	v_mul_f64 v[20:21], v[24:25], v[48:49]
	v_fma_f64 v[222:223], v[22:23], v[50:51], -v[20:21]
	s_waitcnt lgkmcnt(7)
	v_mul_f64 v[20:21], v[62:63], v[52:53]
	v_fma_f64 v[226:227], v[60:61], v[54:55], -v[20:21]
	s_waitcnt lgkmcnt(6)
	v_mul_f64 v[20:21], v[66:67], v[56:57]
	v_mul_f64 v[228:229], v[66:67], v[58:59]
	v_fma_f64 v[66:67], v[64:65], v[58:59], -v[20:21]
	s_waitcnt lgkmcnt(4)
	v_mul_f64 v[230:231], v[70:71], v[178:179]
	v_mul_f64 v[20:21], v[70:71], v[176:177]
	v_fmac_f64_e32 v[230:231], v[68:69], v[176:177]
	v_fma_f64 v[176:177], v[68:69], v[178:179], -v[20:21]
	s_waitcnt lgkmcnt(3)
	v_mul_f64 v[178:179], v[74:75], v[182:183]
	v_mul_f64 v[20:21], v[74:75], v[180:181]
	;; [unrolled: 1-line block ×3, first 2 shown]
	v_fmac_f64_e32 v[178:179], v[72:73], v[180:181]
	v_fma_f64 v[74:75], v[72:73], v[182:183], -v[20:21]
	s_waitcnt lgkmcnt(1)
	v_mul_f64 v[180:181], v[78:79], v[186:187]
	v_mul_f64 v[20:21], v[78:79], v[184:185]
	v_fmac_f64_e32 v[220:221], v[22:23], v[48:49]
	v_fmac_f64_e32 v[180:181], v[76:77], v[184:185]
	v_fma_f64 v[76:77], v[76:77], v[186:187], -v[20:21]
	s_waitcnt lgkmcnt(0)
	v_mul_f64 v[78:79], v[94:95], v[190:191]
	v_mul_f64 v[20:21], v[94:95], v[188:189]
	v_add_f64 v[22:23], v[192:193], v[6:7]
	v_fmac_f64_e32 v[78:79], v[92:93], v[188:189]
	v_fma_f64 v[92:93], v[92:93], v[190:191], -v[20:21]
	v_add_f64 v[20:21], v[12:13], v[192:193]
	v_fmac_f64_e32 v[12:13], -0.5, v[22:23]
	v_add_f64 v[22:23], v[4:5], -v[8:9]
	v_fma_f64 v[24:25], s[4:5], v[22:23], v[12:13]
	v_fmac_f64_e32 v[12:13], s[6:7], v[22:23]
	v_add_f64 v[22:23], v[14:15], v[4:5]
	v_add_f64 v[4:5], v[4:5], v[8:9]
	v_fmac_f64_e32 v[14:15], -0.5, v[4:5]
	v_add_f64 v[4:5], v[192:193], -v[6:7]
	v_fma_f64 v[26:27], s[6:7], v[4:5], v[14:15]
	v_fmac_f64_e32 v[14:15], s[4:5], v[4:5]
	v_add_f64 v[4:5], v[16:17], v[10:11]
	v_add_f64 v[28:29], v[4:5], v[196:197]
	v_add_f64 v[4:5], v[10:11], v[196:197]
	v_fmac_f64_e32 v[16:17], -0.5, v[4:5]
	v_add_f64 v[4:5], v[194:195], -v[198:199]
	v_fma_f64 v[32:33], s[4:5], v[4:5], v[16:17]
	v_fmac_f64_e32 v[16:17], s[6:7], v[4:5]
	v_add_f64 v[4:5], v[18:19], v[194:195]
	;; [unrolled: 7-line block ×6, first 2 shown]
	v_add_f64 v[46:47], v[4:5], v[214:215]
	v_add_f64 v[4:5], v[210:211], v[214:215]
	v_fmac_f64_e32 v[162:163], -0.5, v[4:5]
	v_add_f64 v[4:5], v[208:209], -v[212:213]
	v_mul_f64 v[224:225], v[62:63], v[54:55]
	v_fma_f64 v[50:51], s[6:7], v[4:5], v[162:163]
	v_fmac_f64_e32 v[162:163], s[4:5], v[4:5]
	v_add_f64 v[4:5], v[164:165], v[216:217]
	v_fmac_f64_e32 v[224:225], v[60:61], v[52:53]
	v_add_f64 v[52:53], v[4:5], v[220:221]
	v_add_f64 v[4:5], v[216:217], v[220:221]
	v_fmac_f64_e32 v[164:165], -0.5, v[4:5]
	v_add_f64 v[4:5], v[218:219], -v[222:223]
	v_fmac_f64_e32 v[228:229], v[64:65], v[56:57]
	v_fma_f64 v[56:57], s[4:5], v[4:5], v[164:165]
	v_fmac_f64_e32 v[164:165], s[6:7], v[4:5]
	v_add_f64 v[4:5], v[166:167], v[218:219]
	v_add_f64 v[54:55], v[4:5], v[222:223]
	v_add_f64 v[4:5], v[218:219], v[222:223]
	v_fmac_f64_e32 v[166:167], -0.5, v[4:5]
	v_add_f64 v[4:5], v[216:217], -v[220:221]
	v_fma_f64 v[58:59], s[6:7], v[4:5], v[166:167]
	v_fmac_f64_e32 v[166:167], s[4:5], v[4:5]
	v_add_f64 v[4:5], v[168:169], v[224:225]
	v_add_f64 v[60:61], v[4:5], v[228:229]
	v_add_f64 v[4:5], v[224:225], v[228:229]
	v_fmac_f64_e32 v[168:169], -0.5, v[4:5]
	v_add_f64 v[4:5], v[226:227], -v[66:67]
	v_fma_f64 v[64:65], s[4:5], v[4:5], v[168:169]
	v_fmac_f64_e32 v[168:169], s[6:7], v[4:5]
	v_add_f64 v[4:5], v[170:171], v[226:227]
	v_add_f64 v[62:63], v[4:5], v[66:67]
	v_add_f64 v[4:5], v[226:227], v[66:67]
	v_fmac_f64_e32 v[170:171], -0.5, v[4:5]
	v_add_f64 v[4:5], v[224:225], -v[228:229]
	v_fma_f64 v[66:67], s[6:7], v[4:5], v[170:171]
	v_fmac_f64_e32 v[170:171], s[4:5], v[4:5]
	v_add_f64 v[4:5], v[172:173], v[230:231]
	v_add_f64 v[20:21], v[20:21], v[6:7]
	;; [unrolled: 1-line block ×5, first 2 shown]
	v_fmac_f64_e32 v[172:173], -0.5, v[4:5]
	v_add_f64 v[4:5], v[176:177], -v[74:75]
	s_waitcnt lgkmcnt(0)
	; wave barrier
	ds_write_b128 v148, v[20:23]
	ds_write_b128 v148, v[24:27] offset:1152
	ds_write_b128 v148, v[12:15] offset:2304
	v_accvgpr_read_b32 v12, a101
	v_fma_f64 v[72:73], s[4:5], v[4:5], v[172:173]
	v_fmac_f64_e32 v[172:173], s[6:7], v[4:5]
	v_add_f64 v[4:5], v[174:175], v[176:177]
	ds_write_b128 v12, v[28:31]
	ds_write_b128 v12, v[32:35] offset:1152
	ds_write_b128 v12, v[16:19] offset:2304
	v_accvgpr_read_b32 v12, a136
	v_add_f64 v[70:71], v[4:5], v[74:75]
	v_add_f64 v[4:5], v[176:177], v[74:75]
	ds_write_b128 v12, v[36:39]
	ds_write_b128 v12, v[40:43] offset:1152
	ds_write_b128 v12, v[116:119] offset:2304
	v_accvgpr_read_b32 v12, a1
	v_fmac_f64_e32 v[174:175], -0.5, v[4:5]
	v_add_f64 v[4:5], v[230:231], -v[178:179]
	v_add_f64 v[6:7], v[180:181], v[78:79]
	ds_write_b128 v12, v[44:47]
	ds_write_b128 v12, v[48:51] offset:1152
	ds_write_b128 v12, v[160:163] offset:2304
	v_accvgpr_read_b32 v12, a137
	v_fma_f64 v[74:75], s[6:7], v[4:5], v[174:175]
	v_fmac_f64_e32 v[174:175], s[4:5], v[4:5]
	v_add_f64 v[4:5], v[0:1], v[180:181]
	v_fmac_f64_e32 v[0:1], -0.5, v[6:7]
	v_add_f64 v[6:7], v[76:77], -v[92:93]
	v_add_f64 v[10:11], v[76:77], v[92:93]
	ds_write_b128 v12, v[52:55]
	ds_write_b128 v12, v[56:59] offset:1152
	ds_write_b128 v12, v[164:167] offset:2304
	v_accvgpr_read_b32 v12, a100
	v_fma_f64 v[8:9], s[4:5], v[6:7], v[0:1]
	v_fmac_f64_e32 v[0:1], s[6:7], v[6:7]
	v_add_f64 v[6:7], v[2:3], v[76:77]
	v_fmac_f64_e32 v[2:3], -0.5, v[10:11]
	v_add_f64 v[76:77], v[180:181], -v[78:79]
	ds_write_b128 v12, v[60:63]
	ds_write_b128 v12, v[64:67] offset:1152
	ds_write_b128 v12, v[168:171] offset:2304
	v_accvgpr_read_b32 v12, a35
	v_add_f64 v[4:5], v[4:5], v[78:79]
	v_add_f64 v[6:7], v[6:7], v[92:93]
	v_fma_f64 v[10:11], s[6:7], v[76:77], v[2:3]
	v_fmac_f64_e32 v[2:3], s[4:5], v[76:77]
	ds_write_b128 v12, v[68:71]
	ds_write_b128 v12, v[72:75] offset:1152
	ds_write_b128 v12, v[172:175] offset:2304
	;; [unrolled: 1-line block ×5, first 2 shown]
	s_waitcnt lgkmcnt(0)
	; wave barrier
	s_waitcnt lgkmcnt(0)
	ds_read_b128 v[20:23], v148
	ds_read_b128 v[164:167], v148 offset:3456
	ds_read_b128 v[160:163], v148 offset:6912
	;; [unrolled: 1-line block ×20, first 2 shown]
	s_and_saveexec_b64 s[4:5], s[0:1]
	s_cbranch_execz .LBB0_7
; %bb.6:
	ds_read_b128 v[4:7], v148 offset:3024
	ds_read_b128 v[8:11], v148 offset:6480
	;; [unrolled: 1-line block ×7, first 2 shown]
.LBB0_7:
	s_or_b64 exec, exec, s[4:5]
	s_waitcnt lgkmcnt(14)
	v_mul_f64 v[150:151], v[102:103], v[166:167]
	v_mul_f64 v[102:103], v[102:103], v[164:165]
	v_fmac_f64_e32 v[150:151], v[100:101], v[164:165]
	v_fma_f64 v[100:101], v[100:101], v[166:167], -v[102:103]
	v_mul_f64 v[102:103], v[90:91], v[162:163]
	v_mul_f64 v[90:91], v[90:91], v[160:161]
	v_fmac_f64_e32 v[102:103], v[88:89], v[160:161]
	v_fma_f64 v[88:89], v[88:89], v[162:163], -v[90:91]
	;; [unrolled: 4-line block ×3, first 2 shown]
	v_accvgpr_read_b32 v119, a43
	v_accvgpr_read_b32 v118, a42
	;; [unrolled: 1-line block ×4, first 2 shown]
	v_mul_f64 v[86:87], v[118:119], v[94:95]
	v_fmac_f64_e32 v[86:87], v[116:117], v[92:93]
	v_mul_f64 v[92:93], v[118:119], v[92:93]
	v_fma_f64 v[92:93], v[116:117], v[94:95], -v[92:93]
	v_mul_f64 v[94:95], v[106:107], v[78:79]
	v_fmac_f64_e32 v[94:95], v[104:105], v[76:77]
	v_mul_f64 v[76:77], v[106:107], v[76:77]
	v_fma_f64 v[76:77], v[104:105], v[78:79], -v[76:77]
	v_mul_f64 v[78:79], v[98:99], v[66:67]
	v_fmac_f64_e32 v[78:79], v[96:97], v[64:65]
	v_mul_f64 v[64:65], v[98:99], v[64:65]
	s_waitcnt lgkmcnt(10)
	v_mul_f64 v[106:107], v[114:115], v[62:63]
	v_fma_f64 v[96:97], v[96:97], v[66:67], -v[64:65]
	v_mul_f64 v[98:99], v[130:131], v[74:75]
	v_mul_f64 v[64:65], v[130:131], v[72:73]
	v_fmac_f64_e32 v[106:107], v[112:113], v[60:61]
	v_mul_f64 v[60:61], v[114:115], v[60:61]
	s_waitcnt lgkmcnt(9)
	v_mul_f64 v[114:115], v[110:111], v[58:59]
	v_fmac_f64_e32 v[98:99], v[128:129], v[72:73]
	v_fma_f64 v[72:73], v[128:129], v[74:75], -v[64:65]
	v_mul_f64 v[74:75], v[122:123], v[70:71]
	v_fmac_f64_e32 v[114:115], v[108:109], v[56:57]
	v_mul_f64 v[56:57], v[110:111], v[56:57]
	s_waitcnt lgkmcnt(8)
	v_mul_f64 v[110:111], v[134:135], v[54:55]
	s_waitcnt lgkmcnt(7)
	v_mul_f64 v[118:119], v[126:127], v[50:51]
	v_fmac_f64_e32 v[74:75], v[120:121], v[68:69]
	v_mul_f64 v[64:65], v[122:123], v[68:69]
	v_fma_f64 v[112:113], v[112:113], v[62:63], -v[60:61]
	v_fmac_f64_e32 v[110:111], v[132:133], v[52:53]
	v_mul_f64 v[52:53], v[134:135], v[52:53]
	v_fmac_f64_e32 v[118:119], v[124:125], v[48:49]
	v_mul_f64 v[48:49], v[126:127], v[48:49]
	s_waitcnt lgkmcnt(2)
	v_mul_f64 v[60:61], v[138:139], v[34:35]
	s_waitcnt lgkmcnt(0)
	v_mul_f64 v[68:69], v[82:83], v[26:27]
	v_fma_f64 v[104:105], v[120:121], v[70:71], -v[64:65]
	v_fma_f64 v[116:117], v[132:133], v[54:55], -v[52:53]
	;; [unrolled: 1-line block ×3, first 2 shown]
	v_mul_f64 v[50:51], v[146:147], v[42:43]
	v_mul_f64 v[52:53], v[142:143], v[38:39]
	v_fmac_f64_e32 v[60:61], v[136:137], v[32:33]
	v_mul_f64 v[32:33], v[138:139], v[32:33]
	v_fmac_f64_e32 v[68:69], v[80:81], v[24:25]
	;; [unrolled: 2-line block ×4, first 2 shown]
	v_mul_f64 v[36:37], v[142:143], v[36:37]
	v_fma_f64 v[62:63], v[136:137], v[34:35], -v[32:33]
	v_mul_f64 v[64:65], v[154:155], v[30:31]
	v_fma_f64 v[70:71], v[80:81], v[26:27], -v[24:25]
	v_add_f64 v[24:25], v[150:151], v[78:79]
	v_add_f64 v[32:33], v[102:103], v[94:95]
	v_fma_f64 v[108:109], v[108:109], v[58:59], -v[56:57]
	v_mul_f64 v[48:49], v[158:159], v[46:47]
	v_fma_f64 v[56:57], v[144:145], v[42:43], -v[40:41]
	v_fma_f64 v[58:59], v[140:141], v[38:39], -v[36:37]
	v_fmac_f64_e32 v[64:65], v[152:153], v[28:29]
	v_mul_f64 v[28:29], v[154:155], v[28:29]
	v_add_f64 v[26:27], v[100:101], v[96:97]
	v_add_f64 v[34:35], v[88:89], v[76:77]
	v_add_f64 v[38:39], v[88:89], -v[76:77]
	v_add_f64 v[40:41], v[90:91], v[86:87]
	v_add_f64 v[76:77], v[32:33], v[24:25]
	v_fmac_f64_e32 v[48:49], v[156:157], v[44:45]
	v_mul_f64 v[44:45], v[158:159], v[44:45]
	v_fma_f64 v[66:67], v[152:153], v[30:31], -v[28:29]
	v_add_f64 v[28:29], v[150:151], -v[78:79]
	v_add_f64 v[42:43], v[84:85], v[92:93]
	v_add_f64 v[78:79], v[34:35], v[26:27]
	v_add_f64 v[80:81], v[32:33], -v[24:25]
	v_add_f64 v[24:25], v[24:25], -v[40:41]
	;; [unrolled: 1-line block ×3, first 2 shown]
	v_add_f64 v[40:41], v[40:41], v[76:77]
	v_fma_f64 v[54:55], v[156:157], v[46:47], -v[44:45]
	v_add_f64 v[30:31], v[100:101], -v[96:97]
	v_add_f64 v[36:37], v[102:103], -v[94:95]
	;; [unrolled: 1-line block ×7, first 2 shown]
	v_add_f64 v[42:43], v[42:43], v[78:79]
	v_add_f64 v[20:21], v[20:21], v[40:41]
	s_mov_b32 s12, 0x37e14327
	s_mov_b32 s14, 0x36b3c0b5
	;; [unrolled: 1-line block ×5, first 2 shown]
	v_add_f64 v[84:85], v[44:45], v[36:37]
	v_add_f64 v[86:87], v[46:47], v[38:39]
	v_add_f64 v[88:89], v[44:45], -v[36:37]
	v_add_f64 v[90:91], v[46:47], -v[38:39]
	;; [unrolled: 1-line block ×4, first 2 shown]
	v_add_f64 v[22:23], v[22:23], v[42:43]
	s_mov_b32 s13, 0x3fe948f6
	s_mov_b32 s15, 0x3fac98ee
	;; [unrolled: 1-line block ×5, first 2 shown]
	v_pk_mov_b32 v[92:93], v[20:21], v[20:21] op_sel:[0,1]
	s_mov_b32 s6, 0x5476071b
	s_mov_b32 s26, 0xb247c609
	v_add_f64 v[44:45], v[28:29], -v[44:45]
	v_add_f64 v[46:47], v[30:31], -v[46:47]
	v_add_f64 v[28:29], v[84:85], v[28:29]
	v_add_f64 v[30:31], v[86:87], v[30:31]
	v_mul_f64 v[24:25], v[24:25], s[12:13]
	v_mul_f64 v[26:27], v[26:27], s[12:13]
	;; [unrolled: 1-line block ×8, first 2 shown]
	v_fmac_f64_e32 v[92:93], s[24:25], v[40:41]
	v_pk_mov_b32 v[40:41], v[22:23], v[22:23] op_sel:[0,1]
	s_mov_b32 s7, 0x3fe77f67
	s_mov_b32 s19, 0xbfe77f67
	;; [unrolled: 1-line block ×7, first 2 shown]
	v_fmac_f64_e32 v[40:41], s[24:25], v[42:43]
	v_fma_f64 v[42:43], v[80:81], s[6:7], -v[76:77]
	v_fma_f64 v[76:77], v[82:83], s[6:7], -v[78:79]
	;; [unrolled: 1-line block ×3, first 2 shown]
	v_fmac_f64_e32 v[24:25], s[14:15], v[32:33]
	v_fma_f64 v[32:33], v[82:83], s[18:19], -v[26:27]
	v_fma_f64 v[80:81], v[36:37], s[4:5], -v[84:85]
	v_fmac_f64_e32 v[84:85], s[26:27], v[44:45]
	v_fma_f64 v[36:37], v[38:39], s[4:5], -v[86:87]
	v_fmac_f64_e32 v[86:87], s[26:27], v[46:47]
	v_fma_f64 v[44:45], v[44:45], s[22:23], -v[88:89]
	v_fma_f64 v[46:47], v[46:47], s[22:23], -v[90:91]
	s_mov_b32 s21, 0xbfdc38aa
	v_fmac_f64_e32 v[26:27], s[14:15], v[34:35]
	v_add_f64 v[82:83], v[24:25], v[92:93]
	v_add_f64 v[38:39], v[42:43], v[92:93]
	;; [unrolled: 1-line block ×5, first 2 shown]
	v_fmac_f64_e32 v[86:87], s[20:21], v[30:31]
	v_fmac_f64_e32 v[80:81], s[20:21], v[28:29]
	v_fmac_f64_e32 v[36:37], s[20:21], v[30:31]
	v_fmac_f64_e32 v[44:45], s[20:21], v[28:29]
	v_fmac_f64_e32 v[46:47], s[20:21], v[30:31]
	v_add_f64 v[88:89], v[26:27], v[40:41]
	v_fmac_f64_e32 v[84:85], s[20:21], v[28:29]
	v_add_f64 v[24:25], v[86:87], v[82:83]
	v_add_f64 v[28:29], v[46:47], v[76:77]
	v_add_f64 v[30:31], v[78:79], -v[44:45]
	v_add_f64 v[32:33], v[38:39], -v[36:37]
	v_add_f64 v[34:35], v[80:81], v[42:43]
	v_add_f64 v[36:37], v[36:37], v[38:39]
	v_add_f64 v[38:39], v[42:43], -v[80:81]
	v_add_f64 v[40:41], v[76:77], -v[46:47]
	v_add_f64 v[42:43], v[44:45], v[78:79]
	v_add_f64 v[44:45], v[82:83], -v[86:87]
	v_add_f64 v[76:77], v[98:99], v[118:119]
	v_add_f64 v[82:83], v[74:75], v[110:111]
	v_add_f64 v[26:27], v[88:89], -v[84:85]
	v_add_f64 v[46:47], v[84:85], v[88:89]
	v_add_f64 v[78:79], v[72:73], v[120:121]
	;; [unrolled: 1-line block ×5, first 2 shown]
	v_add_f64 v[80:81], v[98:99], -v[118:119]
	v_add_f64 v[90:91], v[112:113], v[108:109]
	v_add_f64 v[98:99], v[84:85], v[78:79]
	v_add_f64 v[100:101], v[82:83], -v[76:77]
	v_add_f64 v[76:77], v[76:77], -v[88:89]
	;; [unrolled: 1-line block ×3, first 2 shown]
	v_add_f64 v[88:89], v[88:89], v[96:97]
	v_add_f64 v[72:73], v[72:73], -v[120:121]
	v_add_f64 v[86:87], v[104:105], -v[116:117]
	;; [unrolled: 1-line block ×6, first 2 shown]
	v_add_f64 v[90:91], v[90:91], v[98:99]
	v_add_f64 v[16:17], v[16:17], v[88:89]
	v_add_f64 v[74:75], v[74:75], -v[110:111]
	v_add_f64 v[92:93], v[114:115], -v[106:107]
	v_add_f64 v[106:107], v[94:95], v[86:87]
	v_add_f64 v[110:111], v[94:95], -v[86:87]
	v_add_f64 v[86:87], v[86:87], -v[72:73]
	v_add_f64 v[18:19], v[18:19], v[90:91]
	v_pk_mov_b32 v[112:113], v[16:17], v[16:17] op_sel:[0,1]
	v_add_f64 v[104:105], v[92:93], v[74:75]
	v_add_f64 v[108:109], v[92:93], -v[74:75]
	v_add_f64 v[94:95], v[72:73], -v[94:95]
	;; [unrolled: 1-line block ×3, first 2 shown]
	v_add_f64 v[72:73], v[106:107], v[72:73]
	v_mul_f64 v[76:77], v[76:77], s[12:13]
	v_mul_f64 v[78:79], v[78:79], s[12:13]
	;; [unrolled: 1-line block ×6, first 2 shown]
	v_fmac_f64_e32 v[112:113], s[24:25], v[88:89]
	v_pk_mov_b32 v[88:89], v[18:19], v[18:19] op_sel:[0,1]
	v_add_f64 v[92:93], v[80:81], -v[92:93]
	v_add_f64 v[80:81], v[104:105], v[80:81]
	v_mul_f64 v[104:105], v[108:109], s[16:17]
	v_mul_f64 v[108:109], v[74:75], s[4:5]
	v_fmac_f64_e32 v[88:89], s[24:25], v[90:91]
	v_fma_f64 v[90:91], v[100:101], s[6:7], -v[96:97]
	v_fma_f64 v[96:97], v[102:103], s[6:7], -v[98:99]
	;; [unrolled: 1-line block ×3, first 2 shown]
	v_fmac_f64_e32 v[76:77], s[14:15], v[82:83]
	v_fma_f64 v[82:83], v[102:103], s[18:19], -v[78:79]
	v_fmac_f64_e32 v[78:79], s[14:15], v[84:85]
	v_fma_f64 v[84:85], v[86:87], s[4:5], -v[106:107]
	;; [unrolled: 2-line block ×3, first 2 shown]
	v_fma_f64 v[100:101], v[74:75], s[4:5], -v[104:105]
	v_fmac_f64_e32 v[104:105], s[26:27], v[92:93]
	v_fma_f64 v[92:93], v[92:93], s[22:23], -v[108:109]
	v_add_f64 v[86:87], v[90:91], v[112:113]
	v_add_f64 v[90:91], v[96:97], v[88:89]
	;; [unrolled: 1-line block ×3, first 2 shown]
	v_fmac_f64_e32 v[94:95], s[20:21], v[72:73]
	v_add_f64 v[102:103], v[76:77], v[112:113]
	v_add_f64 v[108:109], v[78:79], v[88:89]
	v_add_f64 v[98:99], v[82:83], v[88:89]
	v_fmac_f64_e32 v[100:101], s[20:21], v[80:81]
	v_fmac_f64_e32 v[84:85], s[20:21], v[72:73]
	;; [unrolled: 1-line block ×3, first 2 shown]
	v_add_f64 v[76:77], v[94:95], v[96:97]
	v_add_f64 v[88:89], v[96:97], -v[94:95]
	v_add_f64 v[96:97], v[48:49], v[68:69]
	v_add_f64 v[48:49], v[48:49], -v[68:69]
	v_add_f64 v[68:69], v[50:51], v[64:65]
	v_fmac_f64_e32 v[104:105], s[20:21], v[80:81]
	v_add_f64 v[78:79], v[98:99], -v[92:93]
	v_add_f64 v[80:81], v[86:87], -v[84:85]
	v_add_f64 v[82:83], v[100:101], v[90:91]
	v_add_f64 v[84:85], v[84:85], v[86:87]
	v_add_f64 v[86:87], v[90:91], -v[100:101]
	v_add_f64 v[90:91], v[92:93], v[98:99]
	v_add_f64 v[98:99], v[54:55], v[70:71]
	v_add_f64 v[54:55], v[54:55], -v[70:71]
	v_add_f64 v[70:71], v[56:57], v[66:67]
	v_add_f64 v[50:51], v[50:51], -v[64:65]
	;; [unrolled: 2-line block ×5, first 2 shown]
	v_add_f64 v[62:63], v[70:71], v[98:99]
	v_add_f64 v[60:61], v[64:65], v[60:61]
	v_fmac_f64_e32 v[106:107], s[20:21], v[72:73]
	v_add_f64 v[62:63], v[66:67], v[62:63]
	v_add_f64 v[12:13], v[12:13], v[60:61]
	;; [unrolled: 1-line block ×3, first 2 shown]
	v_add_f64 v[74:75], v[108:109], -v[104:105]
	v_add_f64 v[92:93], v[102:103], -v[106:107]
	v_add_f64 v[94:95], v[104:105], v[108:109]
	v_add_f64 v[100:101], v[68:69], -v[96:97]
	v_add_f64 v[102:103], v[70:71], -v[98:99]
	;; [unrolled: 1-line block ×6, first 2 shown]
	v_add_f64 v[104:105], v[52:53], v[50:51]
	v_add_f64 v[106:107], v[58:59], v[56:57]
	v_add_f64 v[108:109], v[52:53], -v[50:51]
	v_add_f64 v[110:111], v[58:59], -v[56:57]
	;; [unrolled: 1-line block ×4, first 2 shown]
	v_add_f64 v[14:15], v[14:15], v[62:63]
	v_pk_mov_b32 v[112:113], v[12:13], v[12:13] op_sel:[0,1]
	v_add_f64 v[52:53], v[48:49], -v[52:53]
	v_add_f64 v[58:59], v[54:55], -v[58:59]
	v_add_f64 v[48:49], v[104:105], v[48:49]
	v_add_f64 v[54:55], v[106:107], v[54:55]
	v_mul_f64 v[64:65], v[96:97], s[12:13]
	v_mul_f64 v[66:67], v[98:99], s[12:13]
	;; [unrolled: 1-line block ×8, first 2 shown]
	v_fmac_f64_e32 v[112:113], s[24:25], v[60:61]
	v_pk_mov_b32 v[60:61], v[14:15], v[14:15] op_sel:[0,1]
	v_fmac_f64_e32 v[60:61], s[24:25], v[62:63]
	v_fma_f64 v[62:63], v[100:101], s[6:7], -v[96:97]
	v_fma_f64 v[96:97], v[102:103], s[6:7], -v[98:99]
	;; [unrolled: 1-line block ×3, first 2 shown]
	v_fmac_f64_e32 v[64:65], s[14:15], v[68:69]
	v_fma_f64 v[68:69], v[102:103], s[18:19], -v[66:67]
	v_fmac_f64_e32 v[66:67], s[14:15], v[70:71]
	v_fma_f64 v[70:71], v[50:51], s[4:5], -v[104:105]
	;; [unrolled: 2-line block ×4, first 2 shown]
	v_fma_f64 v[108:109], v[58:59], s[22:23], -v[110:111]
	v_add_f64 v[110:111], v[64:65], v[112:113]
	v_add_f64 v[114:115], v[66:67], v[60:61]
	;; [unrolled: 1-line block ×6, first 2 shown]
	v_fmac_f64_e32 v[104:105], s[20:21], v[48:49]
	v_fmac_f64_e32 v[106:107], s[20:21], v[54:55]
	;; [unrolled: 1-line block ×6, first 2 shown]
	v_add_f64 v[48:49], v[106:107], v[110:111]
	v_add_f64 v[50:51], v[114:115], -v[104:105]
	v_add_f64 v[52:53], v[108:109], v[66:67]
	v_add_f64 v[54:55], v[68:69], -v[102:103]
	v_add_f64 v[56:57], v[62:63], -v[100:101]
	v_add_f64 v[58:59], v[70:71], v[64:65]
	v_add_f64 v[60:61], v[100:101], v[62:63]
	v_add_f64 v[62:63], v[64:65], -v[70:71]
	v_add_f64 v[64:65], v[66:67], -v[108:109]
	v_add_f64 v[66:67], v[102:103], v[68:69]
	v_add_f64 v[68:69], v[110:111], -v[106:107]
	v_add_f64 v[70:71], v[104:105], v[114:115]
	ds_write_b128 v148, v[20:23]
	ds_write_b128 v148, v[24:27] offset:3456
	ds_write_b128 v148, v[28:31] offset:6912
	;; [unrolled: 1-line block ×20, first 2 shown]
	s_and_saveexec_b64 s[28:29], s[0:1]
	s_cbranch_execz .LBB0_9
; %bb.8:
	buffer_load_dword v54, off, s[36:39], 0 offset:620 ; 4-byte Folded Reload
	buffer_load_dword v55, off, s[36:39], 0 offset:624 ; 4-byte Folded Reload
	;; [unrolled: 1-line block ×24, first 2 shown]
	v_accvgpr_read_b32 v39, a17
	v_accvgpr_read_b32 v38, a16
	;; [unrolled: 1-line block ×16, first 2 shown]
	s_waitcnt vmcnt(20)
	v_mul_f64 v[12:13], v[56:57], v[10:11]
	s_waitcnt vmcnt(16)
	v_mul_f64 v[14:15], v[60:61], v[38:39]
	v_fmac_f64_e32 v[14:15], v[58:59], v[36:37]
	v_mul_f64 v[36:37], v[60:61], v[36:37]
	s_waitcnt vmcnt(4)
	v_mul_f64 v[26:27], v[42:43], v[2:3]
	v_fmac_f64_e32 v[26:27], v[40:41], v[0:1]
	v_mul_f64 v[0:1], v[42:43], v[0:1]
	v_fmac_f64_e32 v[12:13], v[54:55], v[8:9]
	v_fma_f64 v[36:37], v[58:59], v[38:39], -v[36:37]
	v_mul_f64 v[8:9], v[56:57], v[8:9]
	s_waitcnt vmcnt(0)
	v_mul_f64 v[38:39], v[64:65], v[74:75]
	v_fma_f64 v[40:41], v[40:41], v[2:3], -v[0:1]
	v_mul_f64 v[2:3], v[52:53], v[66:67]
	v_mul_f64 v[18:19], v[48:49], v[72:73]
	v_fma_f64 v[8:9], v[54:55], v[10:11], -v[8:9]
	v_fma_f64 v[38:39], v[62:63], v[76:77], -v[38:39]
	;; [unrolled: 1-line block ×3, first 2 shown]
	v_mul_f64 v[2:3], v[48:49], v[70:71]
	v_fmac_f64_e32 v[18:19], v[46:47], v[70:71]
	v_add_f64 v[10:11], v[8:9], v[36:37]
	v_add_f64 v[42:43], v[40:41], v[38:39]
	v_fma_f64 v[46:47], v[46:47], v[72:73], -v[2:3]
	v_add_f64 v[0:1], v[42:43], v[10:11]
	v_add_f64 v[48:49], v[44:45], v[46:47]
	;; [unrolled: 1-line block ×3, first 2 shown]
	v_mul_f64 v[20:21], v[52:53], v[68:69]
	v_add_f64 v[2:3], v[6:7], v[0:1]
	v_fmac_f64_e32 v[20:21], v[50:51], v[66:67]
	v_pk_mov_b32 v[50:51], v[2:3], v[2:3] op_sel:[0,1]
	v_mul_f64 v[28:29], v[64:65], v[76:77]
	v_fmac_f64_e32 v[50:51], s[24:25], v[0:1]
	v_add_f64 v[0:1], v[10:11], -v[48:49]
	v_fmac_f64_e32 v[28:29], v[62:63], v[74:75]
	v_mul_f64 v[52:53], v[0:1], s[12:13]
	v_add_f64 v[0:1], v[48:49], -v[42:43]
	v_add_f64 v[16:17], v[12:13], -v[14:15]
	v_mul_f64 v[48:49], v[0:1], s[14:15]
	v_fma_f64 v[0:1], s[14:15], v[0:1], v[52:53]
	v_add_f64 v[12:13], v[12:13], v[14:15]
	v_add_f64 v[14:15], v[26:27], v[28:29]
	v_add_f64 v[22:23], v[18:19], -v[20:21]
	v_add_f64 v[54:55], v[0:1], v[50:51]
	v_add_f64 v[0:1], v[14:15], v[12:13]
	;; [unrolled: 1-line block ×5, first 2 shown]
	v_add_f64 v[30:31], v[26:27], -v[28:29]
	v_pk_mov_b32 v[26:27], v[0:1], v[0:1] op_sel:[0,1]
	v_add_f64 v[4:5], v[12:13], -v[18:19]
	v_fmac_f64_e32 v[26:27], s[24:25], v[20:21]
	v_mul_f64 v[20:21], v[4:5], s[12:13]
	v_add_f64 v[4:5], v[18:19], -v[14:15]
	v_add_f64 v[24:25], v[16:17], -v[22:23]
	v_add_f64 v[32:33], v[22:23], -v[30:31]
	v_add_f64 v[22:23], v[22:23], v[30:31]
	v_mul_f64 v[18:19], v[4:5], s[14:15]
	v_fma_f64 v[4:5], s[14:15], v[4:5], v[20:21]
	v_add_f64 v[22:23], v[22:23], v[16:17]
	v_add_f64 v[28:29], v[4:5], v[26:27]
	v_add_f64 v[8:9], v[8:9], -v[36:37]
	v_add_f64 v[4:5], v[46:47], -v[44:45]
	v_add_f64 v[38:39], v[40:41], -v[38:39]
	v_add_f64 v[16:17], v[30:31], -v[16:17]
	v_mul_f64 v[32:33], v[32:33], s[16:17]
	v_add_f64 v[36:37], v[8:9], -v[4:5]
	v_add_f64 v[40:41], v[4:5], -v[38:39]
	v_add_f64 v[4:5], v[4:5], v[38:39]
	v_mul_f64 v[30:31], v[16:17], s[4:5]
	v_add_f64 v[12:13], v[14:15], -v[12:13]
	v_add_f64 v[38:39], v[38:39], -v[8:9]
	v_fma_f64 v[34:35], s[26:27], v[24:25], v[32:33]
	v_mul_f64 v[40:41], v[40:41], s[16:17]
	v_add_f64 v[46:47], v[4:5], v[8:9]
	v_fma_f64 v[24:25], v[24:25], s[22:23], -v[30:31]
	v_add_f64 v[30:31], v[42:43], -v[10:11]
	v_fma_f64 v[14:15], v[12:13], s[18:19], -v[20:21]
	v_mul_f64 v[8:9], v[38:39], s[4:5]
	v_fma_f64 v[16:17], v[16:17], s[4:5], -v[32:33]
	v_fma_f64 v[12:13], v[12:13], s[6:7], -v[18:19]
	v_fmac_f64_e32 v[34:35], s[20:21], v[22:23]
	v_fma_f64 v[44:45], s[26:27], v[36:37], v[40:41]
	v_fmac_f64_e32 v[24:25], s[20:21], v[22:23]
	v_fma_f64 v[10:11], v[30:31], s[18:19], -v[52:53]
	v_add_f64 v[20:21], v[14:15], v[26:27]
	v_fma_f64 v[36:37], v[36:37], s[22:23], -v[8:9]
	v_fma_f64 v[14:15], v[30:31], s[6:7], -v[48:49]
	v_fmac_f64_e32 v[16:17], s[20:21], v[22:23]
	v_add_f64 v[22:23], v[12:13], v[26:27]
	v_fma_f64 v[26:27], v[38:39], s[4:5], -v[40:41]
	v_fmac_f64_e32 v[44:45], s[20:21], v[46:47]
	v_add_f64 v[42:43], v[10:11], v[50:51]
	v_fmac_f64_e32 v[36:37], s[20:21], v[46:47]
	v_add_f64 v[30:31], v[14:15], v[50:51]
	;; [unrolled: 2-line block ×3, first 2 shown]
	v_add_f64 v[4:5], v[28:29], -v[44:45]
	v_add_f64 v[10:11], v[24:25], v[42:43]
	v_add_f64 v[8:9], v[20:21], -v[36:37]
	v_add_f64 v[14:15], v[30:31], -v[16:17]
	v_add_f64 v[12:13], v[26:27], v[22:23]
	v_add_f64 v[18:19], v[16:17], v[30:31]
	v_add_f64 v[16:17], v[22:23], -v[26:27]
	v_add_f64 v[22:23], v[42:43], -v[24:25]
	v_add_f64 v[20:21], v[36:37], v[20:21]
	v_add_f64 v[26:27], v[54:55], -v[34:35]
	v_add_f64 v[24:25], v[44:45], v[28:29]
	ds_write_b128 v148, v[0:3] offset:3024
	ds_write_b128 v148, v[24:27] offset:6480
	;; [unrolled: 1-line block ×7, first 2 shown]
.LBB0_9:
	s_or_b64 exec, exec, s[28:29]
	v_accvgpr_read_b32 v6, a34
	v_mad_u64_u32 v[12:13], s[0:1], s10, v6, 0
	v_mov_b32_e32 v4, v13
	v_mad_u64_u32 v[4:5], s[0:1], s11, v6, v[4:5]
	s_waitcnt lgkmcnt(0)
	; wave barrier
	s_waitcnt lgkmcnt(0)
	ds_read_b128 v[0:3], v148
	v_mov_b32_e32 v13, v4
	ds_read_b128 v[4:7], v148 offset:1008
	buffer_load_dword v14, off, s[36:39], 0 offset:568 ; 4-byte Folded Reload
	buffer_load_dword v15, off, s[36:39], 0 offset:572 ; 4-byte Folded Reload
	;; [unrolled: 1-line block ×4, first 2 shown]
	s_mov_b32 s0, 0x6b015ac0
	s_mov_b32 s1, 0x3f45ac05
	s_waitcnt vmcnt(0) lgkmcnt(1)
	v_mul_f64 v[8:9], v[16:17], v[2:3]
	v_fmac_f64_e32 v[8:9], v[14:15], v[0:1]
	v_mul_f64 v[0:1], v[16:17], v[0:1]
	v_fma_f64 v[0:1], v[14:15], v[2:3], -v[0:1]
	v_accvgpr_read_b32 v14, a0
	v_mul_f64 v[10:11], v[0:1], s[0:1]
	v_mad_u64_u32 v[0:1], s[4:5], s8, v14, 0
	v_mov_b32_e32 v2, v1
	v_mad_u64_u32 v[2:3], s[4:5], s9, v14, v[2:3]
	v_mov_b32_e32 v1, v2
	v_lshlrev_b64 v[2:3], 4, v[12:13]
	v_mov_b32_e32 v12, s3
	v_add_co_u32_e32 v14, vcc, s2, v2
	v_addc_co_u32_e32 v15, vcc, v12, v3, vcc
	v_lshlrev_b64 v[12:13], 4, v[0:1]
	v_add_co_u32_e32 v16, vcc, v14, v12
	v_mul_f64 v[8:9], v[8:9], s[0:1]
	v_addc_co_u32_e32 v17, vcc, v15, v13, vcc
	global_store_dwordx4 v[16:17], v[8:11], off
	ds_read_b128 v[0:3], v148 offset:12096
	ds_read_b128 v[8:11], v148 offset:13104
	buffer_load_dword v18, off, s[36:39], 0 offset:532 ; 4-byte Folded Reload
	buffer_load_dword v19, off, s[36:39], 0 offset:536 ; 4-byte Folded Reload
	;; [unrolled: 1-line block ×4, first 2 shown]
	s_waitcnt vmcnt(0) lgkmcnt(1)
	v_mul_f64 v[12:13], v[20:21], v[2:3]
	v_fmac_f64_e32 v[12:13], v[18:19], v[0:1]
	v_mul_f64 v[0:1], v[20:21], v[0:1]
	v_fma_f64 v[0:1], v[18:19], v[2:3], -v[0:1]
	v_mul_f64 v[14:15], v[0:1], s[0:1]
	v_mov_b32_e32 v0, 0x2f40
	v_mad_u64_u32 v[16:17], s[2:3], s8, v0, v[16:17]
	s_mul_i32 s2, s9, 0x2f40
	v_mul_f64 v[12:13], v[12:13], s[0:1]
	v_add_u32_e32 v17, s2, v17
	global_store_dwordx4 v[16:17], v[12:15], off
	buffer_load_dword v12, off, s[36:39], 0 offset:516 ; 4-byte Folded Reload
	s_nop 0
	buffer_load_dword v13, off, s[36:39], 0 offset:520 ; 4-byte Folded Reload
	buffer_load_dword v14, off, s[36:39], 0 offset:524 ; 4-byte Folded Reload
	;; [unrolled: 1-line block ×3, first 2 shown]
	v_mov_b32_e32 v1, 0xffffd4b0
	s_mul_i32 s3, s9, 0xffffd4b0
	s_sub_i32 s3, s3, s8
	s_waitcnt vmcnt(0)
	v_mul_f64 v[2:3], v[14:15], v[6:7]
	v_fmac_f64_e32 v[2:3], v[12:13], v[4:5]
	v_mul_f64 v[4:5], v[14:15], v[4:5]
	v_fma_f64 v[4:5], v[12:13], v[6:7], -v[4:5]
	v_mad_u64_u32 v[12:13], s[4:5], s8, v1, v[16:17]
	v_mul_f64 v[2:3], v[2:3], s[0:1]
	v_mul_f64 v[4:5], v[4:5], s[0:1]
	v_add_u32_e32 v13, s3, v13
	global_store_dwordx4 v[12:13], v[2:5], off
	buffer_load_dword v14, off, s[36:39], 0 offset:500 ; 4-byte Folded Reload
	buffer_load_dword v15, off, s[36:39], 0 offset:504 ; 4-byte Folded Reload
	;; [unrolled: 1-line block ×4, first 2 shown]
	s_waitcnt vmcnt(0) lgkmcnt(0)
	v_mul_f64 v[2:3], v[16:17], v[10:11]
	v_mul_f64 v[4:5], v[16:17], v[8:9]
	v_fmac_f64_e32 v[2:3], v[14:15], v[8:9]
	v_fma_f64 v[4:5], v[14:15], v[10:11], -v[4:5]
	v_mad_u64_u32 v[14:15], s[4:5], s8, v0, v[12:13]
	v_mul_f64 v[2:3], v[2:3], s[0:1]
	v_mul_f64 v[4:5], v[4:5], s[0:1]
	v_add_u32_e32 v15, s2, v15
	global_store_dwordx4 v[14:15], v[2:5], off
	ds_read_b128 v[6:9], v148 offset:2016
	ds_read_b128 v[2:5], v148 offset:3024
	buffer_load_dword v16, off, s[36:39], 0 offset:484 ; 4-byte Folded Reload
	buffer_load_dword v17, off, s[36:39], 0 offset:488 ; 4-byte Folded Reload
	buffer_load_dword v18, off, s[36:39], 0 offset:492 ; 4-byte Folded Reload
	buffer_load_dword v19, off, s[36:39], 0 offset:496 ; 4-byte Folded Reload
	s_waitcnt vmcnt(0) lgkmcnt(1)
	v_mul_f64 v[10:11], v[18:19], v[8:9]
	v_fmac_f64_e32 v[10:11], v[16:17], v[6:7]
	v_mul_f64 v[6:7], v[18:19], v[6:7]
	v_fma_f64 v[6:7], v[16:17], v[8:9], -v[6:7]
	v_mad_u64_u32 v[18:19], s[4:5], s8, v1, v[14:15]
	v_mul_f64 v[10:11], v[10:11], s[0:1]
	v_mul_f64 v[12:13], v[6:7], s[0:1]
	v_add_u32_e32 v19, s3, v19
	global_store_dwordx4 v[18:19], v[10:13], off
	ds_read_b128 v[6:9], v148 offset:14112
	ds_read_b128 v[10:13], v148 offset:15120
	buffer_load_dword v20, off, s[36:39], 0 offset:468 ; 4-byte Folded Reload
	buffer_load_dword v21, off, s[36:39], 0 offset:472 ; 4-byte Folded Reload
	buffer_load_dword v22, off, s[36:39], 0 offset:476 ; 4-byte Folded Reload
	buffer_load_dword v23, off, s[36:39], 0 offset:480 ; 4-byte Folded Reload
	v_mad_u64_u32 v[18:19], s[4:5], s8, v0, v[18:19]
	v_add_u32_e32 v19, s2, v19
	s_waitcnt vmcnt(0) lgkmcnt(1)
	v_mul_f64 v[14:15], v[22:23], v[8:9]
	v_fmac_f64_e32 v[14:15], v[20:21], v[6:7]
	v_mul_f64 v[6:7], v[22:23], v[6:7]
	v_fma_f64 v[6:7], v[20:21], v[8:9], -v[6:7]
	v_mul_f64 v[14:15], v[14:15], s[0:1]
	v_mul_f64 v[16:17], v[6:7], s[0:1]
	global_store_dwordx4 v[18:19], v[14:17], off
	buffer_load_dword v14, off, s[36:39], 0 offset:452 ; 4-byte Folded Reload
	s_nop 0
	buffer_load_dword v15, off, s[36:39], 0 offset:456 ; 4-byte Folded Reload
	buffer_load_dword v16, off, s[36:39], 0 offset:460 ; 4-byte Folded Reload
	buffer_load_dword v17, off, s[36:39], 0 offset:464 ; 4-byte Folded Reload
	s_waitcnt vmcnt(0)
	v_mul_f64 v[6:7], v[16:17], v[4:5]
	v_fmac_f64_e32 v[6:7], v[14:15], v[2:3]
	v_mul_f64 v[2:3], v[16:17], v[2:3]
	v_fma_f64 v[2:3], v[14:15], v[4:5], -v[2:3]
	v_mad_u64_u32 v[14:15], s[4:5], s8, v1, v[18:19]
	v_mul_f64 v[6:7], v[6:7], s[0:1]
	v_mul_f64 v[8:9], v[2:3], s[0:1]
	v_add_u32_e32 v15, s3, v15
	global_store_dwordx4 v[14:15], v[6:9], off
	buffer_load_dword v6, off, s[36:39], 0 offset:404 ; 4-byte Folded Reload
	s_nop 0
	buffer_load_dword v7, off, s[36:39], 0 offset:408 ; 4-byte Folded Reload
	buffer_load_dword v8, off, s[36:39], 0 offset:412 ; 4-byte Folded Reload
	buffer_load_dword v9, off, s[36:39], 0 offset:416 ; 4-byte Folded Reload
	v_mad_u64_u32 v[14:15], s[4:5], s8, v0, v[14:15]
	v_add_u32_e32 v15, s2, v15
	s_waitcnt vmcnt(0) lgkmcnt(0)
	v_mul_f64 v[2:3], v[8:9], v[12:13]
	v_mul_f64 v[4:5], v[8:9], v[10:11]
	v_fmac_f64_e32 v[2:3], v[6:7], v[10:11]
	v_fma_f64 v[4:5], v[6:7], v[12:13], -v[4:5]
	v_mul_f64 v[2:3], v[2:3], s[0:1]
	v_mul_f64 v[4:5], v[4:5], s[0:1]
	global_store_dwordx4 v[14:15], v[2:5], off
	ds_read_b128 v[6:9], v148 offset:4032
	ds_read_b128 v[2:5], v148 offset:5040
	buffer_load_dword v16, off, s[36:39], 0 offset:364 ; 4-byte Folded Reload
	buffer_load_dword v17, off, s[36:39], 0 offset:368 ; 4-byte Folded Reload
	buffer_load_dword v18, off, s[36:39], 0 offset:372 ; 4-byte Folded Reload
	buffer_load_dword v19, off, s[36:39], 0 offset:376 ; 4-byte Folded Reload
	s_waitcnt vmcnt(0) lgkmcnt(1)
	v_mul_f64 v[10:11], v[18:19], v[8:9]
	v_fmac_f64_e32 v[10:11], v[16:17], v[6:7]
	v_mul_f64 v[6:7], v[18:19], v[6:7]
	v_fma_f64 v[6:7], v[16:17], v[8:9], -v[6:7]
	v_mad_u64_u32 v[18:19], s[4:5], s8, v1, v[14:15]
	v_mul_f64 v[10:11], v[10:11], s[0:1]
	v_mul_f64 v[12:13], v[6:7], s[0:1]
	v_add_u32_e32 v19, s3, v19
	global_store_dwordx4 v[18:19], v[10:13], off
	ds_read_b128 v[6:9], v148 offset:16128
	ds_read_b128 v[10:13], v148 offset:17136
	buffer_load_dword v20, off, s[36:39], 0 offset:436 ; 4-byte Folded Reload
	buffer_load_dword v21, off, s[36:39], 0 offset:440 ; 4-byte Folded Reload
	buffer_load_dword v22, off, s[36:39], 0 offset:444 ; 4-byte Folded Reload
	buffer_load_dword v23, off, s[36:39], 0 offset:448 ; 4-byte Folded Reload
	v_mad_u64_u32 v[18:19], s[4:5], s8, v0, v[18:19]
	v_add_u32_e32 v19, s2, v19
	s_waitcnt vmcnt(0) lgkmcnt(1)
	v_mul_f64 v[14:15], v[22:23], v[8:9]
	v_fmac_f64_e32 v[14:15], v[20:21], v[6:7]
	v_mul_f64 v[6:7], v[22:23], v[6:7]
	v_fma_f64 v[6:7], v[20:21], v[8:9], -v[6:7]
	v_mul_f64 v[14:15], v[14:15], s[0:1]
	v_mul_f64 v[16:17], v[6:7], s[0:1]
	global_store_dwordx4 v[18:19], v[14:17], off
	buffer_load_dword v14, off, s[36:39], 0 offset:420 ; 4-byte Folded Reload
	s_nop 0
	buffer_load_dword v15, off, s[36:39], 0 offset:424 ; 4-byte Folded Reload
	buffer_load_dword v16, off, s[36:39], 0 offset:428 ; 4-byte Folded Reload
	buffer_load_dword v17, off, s[36:39], 0 offset:432 ; 4-byte Folded Reload
	s_waitcnt vmcnt(0)
	v_mul_f64 v[6:7], v[16:17], v[4:5]
	v_fmac_f64_e32 v[6:7], v[14:15], v[2:3]
	v_mul_f64 v[2:3], v[16:17], v[2:3]
	v_fma_f64 v[2:3], v[14:15], v[4:5], -v[2:3]
	v_mad_u64_u32 v[14:15], s[4:5], s8, v1, v[18:19]
	v_mul_f64 v[6:7], v[6:7], s[0:1]
	v_mul_f64 v[8:9], v[2:3], s[0:1]
	v_add_u32_e32 v15, s3, v15
	global_store_dwordx4 v[14:15], v[6:9], off
	buffer_load_dword v6, off, s[36:39], 0 offset:388 ; 4-byte Folded Reload
	s_nop 0
	buffer_load_dword v7, off, s[36:39], 0 offset:392 ; 4-byte Folded Reload
	buffer_load_dword v8, off, s[36:39], 0 offset:396 ; 4-byte Folded Reload
	buffer_load_dword v9, off, s[36:39], 0 offset:400 ; 4-byte Folded Reload
	v_mad_u64_u32 v[14:15], s[4:5], s8, v0, v[14:15]
	v_add_u32_e32 v15, s2, v15
	s_waitcnt vmcnt(0) lgkmcnt(0)
	v_mul_f64 v[2:3], v[8:9], v[12:13]
	v_mul_f64 v[4:5], v[8:9], v[10:11]
	v_fmac_f64_e32 v[2:3], v[6:7], v[10:11]
	v_fma_f64 v[4:5], v[6:7], v[12:13], -v[4:5]
	v_mul_f64 v[2:3], v[2:3], s[0:1]
	v_mul_f64 v[4:5], v[4:5], s[0:1]
	;; [unrolled: 62-line block ×4, first 2 shown]
	global_store_dwordx4 v[14:15], v[2:5], off
	ds_read_b128 v[6:9], v148 offset:10080
	ds_read_b128 v[2:5], v148 offset:11088
	buffer_load_dword v16, off, s[36:39], 0 offset:136 ; 4-byte Folded Reload
	buffer_load_dword v17, off, s[36:39], 0 offset:140 ; 4-byte Folded Reload
	;; [unrolled: 1-line block ×4, first 2 shown]
	s_waitcnt vmcnt(0) lgkmcnt(1)
	v_mul_f64 v[10:11], v[18:19], v[8:9]
	v_fmac_f64_e32 v[10:11], v[16:17], v[6:7]
	v_mul_f64 v[6:7], v[18:19], v[6:7]
	v_fma_f64 v[6:7], v[16:17], v[8:9], -v[6:7]
	v_mad_u64_u32 v[18:19], s[4:5], s8, v1, v[14:15]
	v_mul_f64 v[10:11], v[10:11], s[0:1]
	v_mul_f64 v[12:13], v[6:7], s[0:1]
	v_add_u32_e32 v19, s3, v19
	global_store_dwordx4 v[18:19], v[10:13], off
	ds_read_b128 v[6:9], v148 offset:22176
	ds_read_b128 v[10:13], v148 offset:23184
	buffer_load_dword v20, off, s[36:39], 0 offset:112 ; 4-byte Folded Reload
	buffer_load_dword v21, off, s[36:39], 0 offset:116 ; 4-byte Folded Reload
	;; [unrolled: 1-line block ×4, first 2 shown]
	v_mad_u64_u32 v[18:19], s[4:5], s8, v0, v[18:19]
	v_add_u32_e32 v19, s2, v19
	s_waitcnt vmcnt(0) lgkmcnt(1)
	v_mul_f64 v[14:15], v[22:23], v[8:9]
	v_fmac_f64_e32 v[14:15], v[20:21], v[6:7]
	v_mul_f64 v[6:7], v[22:23], v[6:7]
	v_fma_f64 v[6:7], v[20:21], v[8:9], -v[6:7]
	v_mul_f64 v[14:15], v[14:15], s[0:1]
	v_mul_f64 v[16:17], v[6:7], s[0:1]
	global_store_dwordx4 v[18:19], v[14:17], off
	buffer_load_dword v14, off, s[36:39], 0 offset:88 ; 4-byte Folded Reload
	s_nop 0
	buffer_load_dword v15, off, s[36:39], 0 offset:92 ; 4-byte Folded Reload
	buffer_load_dword v16, off, s[36:39], 0 offset:96 ; 4-byte Folded Reload
	;; [unrolled: 1-line block ×3, first 2 shown]
	s_waitcnt vmcnt(0)
	v_mul_f64 v[6:7], v[16:17], v[4:5]
	v_fmac_f64_e32 v[6:7], v[14:15], v[2:3]
	v_mul_f64 v[2:3], v[16:17], v[2:3]
	v_fma_f64 v[2:3], v[14:15], v[4:5], -v[2:3]
	v_mad_u64_u32 v[14:15], s[4:5], s8, v1, v[18:19]
	v_mul_f64 v[6:7], v[6:7], s[0:1]
	v_mul_f64 v[8:9], v[2:3], s[0:1]
	v_add_u32_e32 v15, s3, v15
	global_store_dwordx4 v[14:15], v[6:9], off
	buffer_load_dword v6, off, s[36:39], 0 offset:64 ; 4-byte Folded Reload
	s_nop 0
	buffer_load_dword v7, off, s[36:39], 0 offset:68 ; 4-byte Folded Reload
	buffer_load_dword v8, off, s[36:39], 0 offset:72 ; 4-byte Folded Reload
	;; [unrolled: 1-line block ×3, first 2 shown]
	s_waitcnt vmcnt(0) lgkmcnt(0)
	v_mul_f64 v[2:3], v[8:9], v[12:13]
	v_mul_f64 v[4:5], v[8:9], v[10:11]
	v_fmac_f64_e32 v[2:3], v[6:7], v[10:11]
	v_fma_f64 v[4:5], v[6:7], v[12:13], -v[4:5]
	v_mul_f64 v[2:3], v[2:3], s[0:1]
	v_mul_f64 v[4:5], v[4:5], s[0:1]
	v_mad_u64_u32 v[0:1], s[0:1], s8, v0, v[14:15]
	v_add_u32_e32 v1, s2, v1
	global_store_dwordx4 v[0:1], v[2:5], off
.LBB0_10:
	s_endpgm
	.section	.rodata,"a",@progbits
	.p2align	6, 0x0
	.amdhsa_kernel bluestein_single_fwd_len1512_dim1_dp_op_CI_CI
		.amdhsa_group_segment_fixed_size 24192
		.amdhsa_private_segment_fixed_size 688
		.amdhsa_kernarg_size 104
		.amdhsa_user_sgpr_count 6
		.amdhsa_user_sgpr_private_segment_buffer 1
		.amdhsa_user_sgpr_dispatch_ptr 0
		.amdhsa_user_sgpr_queue_ptr 0
		.amdhsa_user_sgpr_kernarg_segment_ptr 1
		.amdhsa_user_sgpr_dispatch_id 0
		.amdhsa_user_sgpr_flat_scratch_init 0
		.amdhsa_user_sgpr_kernarg_preload_length 0
		.amdhsa_user_sgpr_kernarg_preload_offset 0
		.amdhsa_user_sgpr_private_segment_size 0
		.amdhsa_uses_dynamic_stack 0
		.amdhsa_system_sgpr_private_segment_wavefront_offset 1
		.amdhsa_system_sgpr_workgroup_id_x 1
		.amdhsa_system_sgpr_workgroup_id_y 0
		.amdhsa_system_sgpr_workgroup_id_z 0
		.amdhsa_system_sgpr_workgroup_info 0
		.amdhsa_system_vgpr_workitem_id 0
		.amdhsa_next_free_vgpr 512
		.amdhsa_next_free_sgpr 40
		.amdhsa_accum_offset 256
		.amdhsa_reserve_vcc 1
		.amdhsa_reserve_flat_scratch 0
		.amdhsa_float_round_mode_32 0
		.amdhsa_float_round_mode_16_64 0
		.amdhsa_float_denorm_mode_32 3
		.amdhsa_float_denorm_mode_16_64 3
		.amdhsa_dx10_clamp 1
		.amdhsa_ieee_mode 1
		.amdhsa_fp16_overflow 0
		.amdhsa_tg_split 0
		.amdhsa_exception_fp_ieee_invalid_op 0
		.amdhsa_exception_fp_denorm_src 0
		.amdhsa_exception_fp_ieee_div_zero 0
		.amdhsa_exception_fp_ieee_overflow 0
		.amdhsa_exception_fp_ieee_underflow 0
		.amdhsa_exception_fp_ieee_inexact 0
		.amdhsa_exception_int_div_zero 0
	.end_amdhsa_kernel
	.text
.Lfunc_end0:
	.size	bluestein_single_fwd_len1512_dim1_dp_op_CI_CI, .Lfunc_end0-bluestein_single_fwd_len1512_dim1_dp_op_CI_CI
                                        ; -- End function
	.section	.AMDGPU.csdata,"",@progbits
; Kernel info:
; codeLenInByte = 38960
; NumSgprs: 44
; NumVgprs: 256
; NumAgprs: 256
; TotalNumVgprs: 512
; ScratchSize: 688
; MemoryBound: 0
; FloatMode: 240
; IeeeMode: 1
; LDSByteSize: 24192 bytes/workgroup (compile time only)
; SGPRBlocks: 5
; VGPRBlocks: 63
; NumSGPRsForWavesPerEU: 44
; NumVGPRsForWavesPerEU: 512
; AccumOffset: 256
; Occupancy: 1
; WaveLimiterHint : 1
; COMPUTE_PGM_RSRC2:SCRATCH_EN: 1
; COMPUTE_PGM_RSRC2:USER_SGPR: 6
; COMPUTE_PGM_RSRC2:TRAP_HANDLER: 0
; COMPUTE_PGM_RSRC2:TGID_X_EN: 1
; COMPUTE_PGM_RSRC2:TGID_Y_EN: 0
; COMPUTE_PGM_RSRC2:TGID_Z_EN: 0
; COMPUTE_PGM_RSRC2:TIDIG_COMP_CNT: 0
; COMPUTE_PGM_RSRC3_GFX90A:ACCUM_OFFSET: 63
; COMPUTE_PGM_RSRC3_GFX90A:TG_SPLIT: 0
	.text
	.p2alignl 6, 3212836864
	.fill 256, 4, 3212836864
	.type	__hip_cuid_bc11bb02c6bc242f,@object ; @__hip_cuid_bc11bb02c6bc242f
	.section	.bss,"aw",@nobits
	.globl	__hip_cuid_bc11bb02c6bc242f
__hip_cuid_bc11bb02c6bc242f:
	.byte	0                               ; 0x0
	.size	__hip_cuid_bc11bb02c6bc242f, 1

	.ident	"AMD clang version 19.0.0git (https://github.com/RadeonOpenCompute/llvm-project roc-6.4.0 25133 c7fe45cf4b819c5991fe208aaa96edf142730f1d)"
	.section	".note.GNU-stack","",@progbits
	.addrsig
	.addrsig_sym __hip_cuid_bc11bb02c6bc242f
	.amdgpu_metadata
---
amdhsa.kernels:
  - .agpr_count:     256
    .args:
      - .actual_access:  read_only
        .address_space:  global
        .offset:         0
        .size:           8
        .value_kind:     global_buffer
      - .actual_access:  read_only
        .address_space:  global
        .offset:         8
        .size:           8
        .value_kind:     global_buffer
      - .actual_access:  read_only
        .address_space:  global
        .offset:         16
        .size:           8
        .value_kind:     global_buffer
      - .actual_access:  read_only
        .address_space:  global
        .offset:         24
        .size:           8
        .value_kind:     global_buffer
      - .actual_access:  read_only
        .address_space:  global
        .offset:         32
        .size:           8
        .value_kind:     global_buffer
      - .offset:         40
        .size:           8
        .value_kind:     by_value
      - .address_space:  global
        .offset:         48
        .size:           8
        .value_kind:     global_buffer
      - .address_space:  global
        .offset:         56
        .size:           8
        .value_kind:     global_buffer
      - .address_space:  global
        .offset:         64
        .size:           8
        .value_kind:     global_buffer
      - .address_space:  global
        .offset:         72
        .size:           8
        .value_kind:     global_buffer
      - .offset:         80
        .size:           4
        .value_kind:     by_value
      - .address_space:  global
        .offset:         88
        .size:           8
        .value_kind:     global_buffer
      - .address_space:  global
        .offset:         96
        .size:           8
        .value_kind:     global_buffer
    .group_segment_fixed_size: 24192
    .kernarg_segment_align: 8
    .kernarg_segment_size: 104
    .language:       OpenCL C
    .language_version:
      - 2
      - 0
    .max_flat_workgroup_size: 63
    .name:           bluestein_single_fwd_len1512_dim1_dp_op_CI_CI
    .private_segment_fixed_size: 688
    .sgpr_count:     44
    .sgpr_spill_count: 0
    .symbol:         bluestein_single_fwd_len1512_dim1_dp_op_CI_CI.kd
    .uniform_work_group_size: 1
    .uses_dynamic_stack: false
    .vgpr_count:     512
    .vgpr_spill_count: 171
    .wavefront_size: 64
amdhsa.target:   amdgcn-amd-amdhsa--gfx90a
amdhsa.version:
  - 1
  - 2
...

	.end_amdgpu_metadata
